;; amdgpu-corpus repo=ROCm/rocFFT kind=compiled arch=gfx906 opt=O3
	.text
	.amdgcn_target "amdgcn-amd-amdhsa--gfx906"
	.amdhsa_code_object_version 6
	.protected	bluestein_single_fwd_len1632_dim1_dp_op_CI_CI ; -- Begin function bluestein_single_fwd_len1632_dim1_dp_op_CI_CI
	.globl	bluestein_single_fwd_len1632_dim1_dp_op_CI_CI
	.p2align	8
	.type	bluestein_single_fwd_len1632_dim1_dp_op_CI_CI,@function
bluestein_single_fwd_len1632_dim1_dp_op_CI_CI: ; @bluestein_single_fwd_len1632_dim1_dp_op_CI_CI
; %bb.0:
	s_mov_b64 s[62:63], s[2:3]
	s_mov_b64 s[60:61], s[0:1]
	v_mul_u32_u24_e32 v1, 0x283, v0
	s_add_u32 s60, s60, s7
	v_add_u32_sdwa v3, s6, v1 dst_sel:DWORD dst_unused:UNUSED_PAD src0_sel:DWORD src1_sel:WORD_1
	s_addc_u32 s61, s61, 0
	v_mov_b32_e32 v2, v3
	buffer_store_dword v2, off, s[60:63], 0 offset:4 ; 4-byte Folded Spill
	s_nop 0
	buffer_store_dword v3, off, s[60:63], 0 offset:8 ; 4-byte Folded Spill
	s_load_dwordx4 s[0:3], s[4:5], 0x28
	v_mov_b32_e32 v4, 0
	s_waitcnt lgkmcnt(0)
	v_cmp_gt_u64_e32 vcc, s[0:1], v[3:4]
	s_and_saveexec_b64 s[0:1], vcc
	s_cbranch_execz .LBB0_23
; %bb.1:
	s_load_dwordx2 s[12:13], s[4:5], 0x0
	s_load_dwordx2 s[14:15], s[4:5], 0x38
	s_movk_i32 s0, 0x66
	v_mul_lo_u16_sdwa v1, v1, s0 dst_sel:DWORD dst_unused:UNUSED_PAD src0_sel:WORD_1 src1_sel:DWORD
	v_sub_u16_e32 v216, v0, v1
	s_movk_i32 s0, 0x60
	v_cmp_gt_u16_e32 vcc, s0, v216
	v_lshlrev_b32_e32 v68, 4, v216
	s_and_saveexec_b64 s[6:7], vcc
	s_cbranch_execz .LBB0_3
; %bb.2:
	s_load_dwordx2 s[0:1], s[4:5], 0x18
	s_waitcnt lgkmcnt(0)
	v_mov_b32_e32 v20, s13
	v_or_b32_e32 v38, 0x180, v216
	v_or_b32_e32 v126, 0x600, v216
	v_lshlrev_b32_e32 v39, 4, v126
	s_load_dwordx4 s[8:11], s[0:1], 0x0
	buffer_load_dword v0, off, s[60:63], 0 offset:4 ; 4-byte Folded Reload
	buffer_load_dword v1, off, s[60:63], 0 offset:8 ; 4-byte Folded Reload
	v_or_b32_e32 v78, 0x300, v216
	v_or_b32_e32 v105, 0x480, v216
	s_movk_i32 s16, 0x4000
	s_waitcnt lgkmcnt(0)
	v_mad_u64_u32 v[2:3], s[0:1], s8, v216, 0
	s_waitcnt vmcnt(1)
	v_mov_b32_e32 v4, v0
	s_waitcnt vmcnt(0)
	v_mad_u64_u32 v[0:1], s[0:1], s10, v4, 0
	s_mul_i32 s10, s8, 0x600
	v_mad_u64_u32 v[4:5], s[0:1], s11, v4, v[1:2]
	s_mul_i32 s11, s8, 0xc00
	v_mad_u64_u32 v[5:6], s[0:1], s9, v216, v[3:4]
	v_mov_b32_e32 v1, v4
	v_lshlrev_b64 v[0:1], 4, v[0:1]
	v_mov_b32_e32 v3, v5
	v_mov_b32_e32 v6, s3
	v_lshlrev_b64 v[2:3], 4, v[2:3]
	v_add_co_u32_e64 v18, s[0:1], s2, v0
	v_addc_co_u32_e64 v19, s[0:1], v6, v1, s[0:1]
	v_add_co_u32_e64 v16, s[0:1], v18, v2
	v_addc_co_u32_e64 v17, s[0:1], v19, v3, s[0:1]
	v_add_co_u32_e64 v125, s[0:1], s12, v68
	s_movk_i32 s2, 0x1000
	v_addc_co_u32_e64 v127, s[0:1], 0, v20, s[0:1]
	v_add_co_u32_e64 v36, s[0:1], s2, v125
	v_lshlrev_b32_e32 v20, 4, v38
	v_addc_co_u32_e64 v37, s[0:1], 0, v127, s[0:1]
	global_load_dwordx4 v[0:3], v68, s[12:13]
	global_load_dwordx4 v[4:7], v[16:17], off
	global_load_dwordx4 v[8:11], v68, s[12:13] offset:1536
	global_load_dwordx4 v[12:15], v68, s[12:13] offset:3072
	s_movk_i32 s3, 0x2000
	global_load_dwordx4 v[20:23], v20, s[12:13]
	s_nop 0
	global_load_dwordx4 v[24:27], v39, s[12:13]
	global_load_dwordx4 v[28:31], v[36:37], off offset:512
	global_load_dwordx4 v[32:35], v[36:37], off offset:3584
	v_mad_u64_u32 v[36:37], s[0:1], s8, v38, 0
	v_add_co_u32_e64 v73, s[2:3], s3, v125
	v_addc_co_u32_e64 v74, s[0:1], 0, v127, s[2:3]
	s_mul_i32 s2, s9, 0x600
	s_mul_hi_u32 s3, s8, 0x600
	s_mul_i32 s0, s9, 0xc00
	s_mul_hi_u32 s1, s8, 0xc00
	s_add_i32 s2, s3, s2
	s_add_i32 s3, s1, s0
	v_mad_u64_u32 v[37:38], s[0:1], s9, v38, v[37:38]
	v_mov_b32_e32 v39, s2
	v_mov_b32_e32 v45, s2
	v_lshlrev_b64 v[36:37], 4, v[36:37]
	v_mov_b32_e32 v46, s2
	v_add_co_u32_e64 v36, s[0:1], v18, v36
	v_addc_co_u32_e64 v37, s[0:1], v19, v37, s[0:1]
	v_add_co_u32_e64 v16, s[0:1], s10, v16
	v_addc_co_u32_e64 v17, s[0:1], v17, v39, s[0:1]
	;; [unrolled: 2-line block ×3, first 2 shown]
	global_load_dwordx4 v[36:39], v[36:37], off
	v_mov_b32_e32 v52, s3
	global_load_dwordx4 v[40:43], v[16:17], off
	v_add_co_u32_e64 v16, s[0:1], s10, v44
	v_addc_co_u32_e64 v17, s[0:1], v45, v46, s[0:1]
	v_add_co_u32_e64 v55, s[0:1], s11, v16
	v_addc_co_u32_e64 v56, s[0:1], v17, v52, s[0:1]
	v_mov_b32_e32 v57, s2
	global_load_dwordx4 v[44:47], v[44:45], off
	v_mov_b32_e32 v60, s2
	global_load_dwordx4 v[48:51], v[16:17], off
	v_add_co_u32_e64 v16, s[0:1], s10, v55
	v_addc_co_u32_e64 v17, s[0:1], v56, v57, s[0:1]
	v_mad_u64_u32 v[75:76], s[0:1], s8, v78, 0
	global_load_dwordx4 v[52:55], v[55:56], off
	v_mov_b32_e32 v81, s3
	global_load_dwordx4 v[56:59], v[16:17], off
	v_add_co_u32_e64 v16, s[0:1], s10, v16
	v_addc_co_u32_e64 v17, s[0:1], v17, v60, s[0:1]
	v_mov_b32_e32 v60, v76
	v_mad_u64_u32 v[76:77], s[0:1], s9, v78, v[60:61]
	global_load_dwordx4 v[60:63], v[16:17], off
	global_load_dwordx4 v[64:67], v[73:74], off offset:1024
	global_load_dwordx4 v[69:72], v[73:74], off offset:2560
	v_mov_b32_e32 v85, s2
	v_lshlrev_b64 v[73:74], 4, v[75:76]
	v_lshlrev_b32_e32 v77, 4, v78
	v_add_co_u32_e64 v73, s[0:1], v18, v73
	v_addc_co_u32_e64 v74, s[0:1], v19, v74, s[0:1]
	v_add_co_u32_e64 v16, s[0:1], s11, v16
	v_addc_co_u32_e64 v17, s[0:1], v17, v81, s[0:1]
	s_movk_i32 s0, 0x3000
	v_add_co_u32_e64 v97, s[0:1], s0, v125
	v_addc_co_u32_e64 v98, s[0:1], 0, v127, s[0:1]
	global_load_dwordx4 v[81:84], v[16:17], off
	v_add_co_u32_e64 v16, s[0:1], s10, v16
	v_addc_co_u32_e64 v17, s[0:1], v17, v85, s[0:1]
	v_mad_u64_u32 v[101:102], s[0:1], s8, v105, 0
	global_load_dwordx4 v[73:76], v[73:74], off
	v_mov_b32_e32 v109, s3
	global_load_dwordx4 v[77:80], v77, s[12:13]
	s_nop 0
	global_load_dwordx4 v[85:88], v[16:17], off
	global_load_dwordx4 v[89:92], v[97:98], off offset:1536
	global_load_dwordx4 v[93:96], v[97:98], off offset:3072
	v_mov_b32_e32 v97, s2
	v_add_co_u32_e64 v16, s[0:1], s10, v16
	v_addc_co_u32_e64 v17, s[0:1], v17, v97, s[0:1]
	v_mad_u64_u32 v[102:103], s[0:1], s9, v105, v[102:103]
	v_add_co_u32_e64 v117, s[0:1], s16, v125
	v_lshlrev_b64 v[101:102], 4, v[101:102]
	v_addc_co_u32_e64 v118, s[0:1], 0, v127, s[0:1]
	v_add_co_u32_e64 v101, s[0:1], v18, v101
	v_addc_co_u32_e64 v102, s[0:1], v19, v102, s[0:1]
	global_load_dwordx4 v[97:100], v[16:17], off
	v_add_co_u32_e64 v16, s[0:1], s11, v16
	v_lshlrev_b32_e32 v105, 4, v105
	v_addc_co_u32_e64 v17, s[0:1], v17, v109, s[0:1]
	global_load_dwordx4 v[101:104], v[101:102], off
	v_mov_b32_e32 v121, s2
	global_load_dwordx4 v[105:108], v105, s[12:13]
	s_nop 0
	global_load_dwordx4 v[109:112], v[16:17], off
	global_load_dwordx4 v[113:116], v[117:118], off offset:512
	s_nop 0
	global_load_dwordx4 v[117:120], v[117:118], off offset:3584
	v_add_co_u32_e64 v16, s[0:1], s10, v16
	v_addc_co_u32_e64 v17, s[0:1], v17, v121, s[0:1]
	s_movk_i32 s0, 0x5000
	v_add_co_u32_e64 v133, s[0:1], s0, v125
	v_addc_co_u32_e64 v134, s[0:1], 0, v127, s[0:1]
	v_mad_u64_u32 v[139:140], s[0:1], s8, v126, 0
	global_load_dwordx4 v[121:124], v[16:17], off
	v_mov_b32_e32 v125, s2
	v_add_co_u32_e64 v16, s[0:1], s10, v16
	v_addc_co_u32_e64 v17, s[0:1], v17, v125, s[0:1]
	v_mov_b32_e32 v125, v140
	v_mad_u64_u32 v[140:141], s[0:1], s9, v126, v[125:126]
	global_load_dwordx4 v[125:128], v[16:17], off
	global_load_dwordx4 v[129:132], v[133:134], off offset:1024
	s_nop 0
	global_load_dwordx4 v[133:136], v[133:134], off offset:2560
	s_waitcnt vmcnt(31)
	v_mul_f64 v[137:138], v[6:7], v[2:3]
	v_lshlrev_b64 v[16:17], 4, v[139:140]
	v_mul_f64 v[139:140], v[4:5], v[2:3]
	v_add_co_u32_e64 v16, s[0:1], v18, v16
	v_addc_co_u32_e64 v17, s[0:1], v19, v17, s[0:1]
	global_load_dwordx4 v[16:19], v[16:17], off
	v_fma_f64 v[2:3], v[4:5], v[0:1], v[137:138]
	v_fma_f64 v[4:5], v[6:7], v[0:1], -v[139:140]
	s_waitcnt vmcnt(24)
	v_mul_f64 v[0:1], v[42:43], v[10:11]
	s_waitcnt vmcnt(23)
	v_mul_f64 v[6:7], v[44:45], v[14:15]
	ds_write_b128 v68, v[2:5]
	v_mul_f64 v[2:3], v[40:41], v[10:11]
	v_mul_f64 v[4:5], v[46:47], v[14:15]
	s_waitcnt vmcnt(22)
	v_mul_f64 v[10:11], v[50:51], v[30:31]
	v_mul_f64 v[14:15], v[48:49], v[30:31]
	;; [unrolled: 1-line block ×4, first 2 shown]
	v_fma_f64 v[0:1], v[40:41], v[8:9], v[0:1]
	v_fma_f64 v[6:7], v[46:47], v[12:13], -v[6:7]
	v_fma_f64 v[2:3], v[42:43], v[8:9], -v[2:3]
	v_fma_f64 v[4:5], v[44:45], v[12:13], v[4:5]
	v_fma_f64 v[8:9], v[48:49], v[28:29], v[10:11]
	v_fma_f64 v[10:11], v[50:51], v[28:29], -v[14:15]
	v_fma_f64 v[12:13], v[36:37], v[20:21], v[30:31]
	v_fma_f64 v[14:15], v[38:39], v[20:21], -v[22:23]
	s_waitcnt vmcnt(21)
	v_mul_f64 v[20:21], v[54:55], v[34:35]
	v_mul_f64 v[22:23], v[52:53], v[34:35]
	s_waitcnt vmcnt(18)
	v_mul_f64 v[28:29], v[58:59], v[66:67]
	v_mul_f64 v[30:31], v[56:57], v[66:67]
	;; [unrolled: 3-line block ×4, first 2 shown]
	v_fma_f64 v[20:21], v[52:53], v[32:33], v[20:21]
	v_fma_f64 v[22:23], v[54:55], v[32:33], -v[22:23]
	v_fma_f64 v[28:29], v[56:57], v[64:65], v[28:29]
	v_fma_f64 v[30:31], v[58:59], v[64:65], -v[30:31]
	v_fma_f64 v[32:33], v[60:61], v[69:70], v[34:35]
	v_fma_f64 v[34:35], v[62:63], v[69:70], -v[36:37]
	v_fma_f64 v[36:37], v[73:74], v[77:78], v[38:39]
	v_fma_f64 v[38:39], v[75:76], v[77:78], -v[40:41]
	ds_write_b128 v68, v[0:3] offset:1536
	ds_write_b128 v68, v[4:7] offset:3072
	;; [unrolled: 1-line block ×8, first 2 shown]
	s_waitcnt vmcnt(12)
	v_mul_f64 v[0:1], v[83:84], v[91:92]
	v_mul_f64 v[2:3], v[81:82], v[91:92]
	s_waitcnt vmcnt(11)
	v_mul_f64 v[4:5], v[87:88], v[95:96]
	v_mul_f64 v[6:7], v[85:86], v[95:96]
	s_waitcnt vmcnt(6)
	v_mul_f64 v[8:9], v[99:100], v[115:116]
	v_mul_f64 v[10:11], v[97:98], v[115:116]
	v_mul_f64 v[12:13], v[103:104], v[107:108]
	v_mul_f64 v[14:15], v[101:102], v[107:108]
	s_waitcnt vmcnt(5)
	v_mul_f64 v[20:21], v[111:112], v[119:120]
	v_mul_f64 v[22:23], v[109:110], v[119:120]
	v_fma_f64 v[0:1], v[81:82], v[89:90], v[0:1]
	v_fma_f64 v[2:3], v[83:84], v[89:90], -v[2:3]
	v_fma_f64 v[4:5], v[85:86], v[93:94], v[4:5]
	v_fma_f64 v[6:7], v[87:88], v[93:94], -v[6:7]
	;; [unrolled: 2-line block ×5, first 2 shown]
	s_waitcnt vmcnt(2)
	v_mul_f64 v[28:29], v[123:124], v[131:132]
	v_mul_f64 v[30:31], v[121:122], v[131:132]
	s_waitcnt vmcnt(1)
	v_mul_f64 v[32:33], v[127:128], v[135:136]
	v_mul_f64 v[34:35], v[125:126], v[135:136]
	;; [unrolled: 3-line block ×3, first 2 shown]
	v_fma_f64 v[26:27], v[121:122], v[129:130], v[28:29]
	v_fma_f64 v[28:29], v[123:124], v[129:130], -v[30:31]
	v_fma_f64 v[30:31], v[125:126], v[133:134], v[32:33]
	v_fma_f64 v[32:33], v[127:128], v[133:134], -v[34:35]
	;; [unrolled: 2-line block ×3, first 2 shown]
	ds_write_b128 v68, v[0:3] offset:13824
	ds_write_b128 v68, v[4:7] offset:15360
	;; [unrolled: 1-line block ×8, first 2 shown]
.LBB0_3:
	s_or_b64 exec, exec, s[6:7]
	s_load_dwordx2 s[0:1], s[4:5], 0x20
	s_load_dwordx2 s[8:9], s[4:5], 0x8
	s_waitcnt vmcnt(0) lgkmcnt(0)
	s_barrier
	s_waitcnt lgkmcnt(0)
                                        ; implicit-def: $vgpr0_vgpr1
                                        ; implicit-def: $vgpr56_vgpr57
                                        ; implicit-def: $vgpr4_vgpr5
                                        ; implicit-def: $vgpr8_vgpr9
                                        ; implicit-def: $vgpr12_vgpr13
                                        ; implicit-def: $vgpr16_vgpr17
                                        ; implicit-def: $vgpr32_vgpr33
                                        ; implicit-def: $vgpr44_vgpr45
                                        ; implicit-def: $vgpr52_vgpr53
                                        ; implicit-def: $vgpr48_vgpr49
                                        ; implicit-def: $vgpr40_vgpr41
                                        ; implicit-def: $vgpr36_vgpr37
                                        ; implicit-def: $vgpr28_vgpr29
                                        ; implicit-def: $vgpr24_vgpr25
                                        ; implicit-def: $vgpr20_vgpr21
                                        ; implicit-def: $vgpr60_vgpr61
                                        ; implicit-def: $vgpr64_vgpr65
	s_and_saveexec_b64 s[2:3], vcc
	s_cbranch_execz .LBB0_5
; %bb.4:
	ds_read_b128 v[0:3], v68
	ds_read_b128 v[64:67], v68 offset:1536
	ds_read_b128 v[56:59], v68 offset:3072
	;; [unrolled: 1-line block ×16, first 2 shown]
.LBB0_5:
	s_or_b64 exec, exec, s[2:3]
	s_waitcnt lgkmcnt(0)
	v_add_f64 v[130:131], v[66:67], -v[54:55]
	v_add_f64 v[134:135], v[64:65], -v[52:53]
	s_mov_b32 s10, 0x5d8e7cdc
	s_mov_b32 s11, 0xbfd71e95
	v_add_f64 v[104:105], v[52:53], v[64:65]
	v_add_f64 v[158:159], v[54:55], v[66:67]
	v_add_f64 v[138:139], v[58:59], -v[46:47]
	v_add_f64 v[140:141], v[56:57], -v[44:45]
	v_mul_f64 v[106:107], v[130:131], s[10:11]
	v_mul_f64 v[108:109], v[134:135], s[10:11]
	s_mov_b32 s2, 0x370991
	s_mov_b32 s24, 0x2a9d6da3
	;; [unrolled: 1-line block ×4, first 2 shown]
	v_add_f64 v[110:111], v[56:57], v[44:45]
	v_add_f64 v[164:165], v[58:59], v[46:47]
	v_fma_f64 v[69:70], v[104:105], s[2:3], v[106:107]
	v_fma_f64 v[71:72], v[158:159], s[2:3], -v[108:109]
	v_mul_f64 v[116:117], v[138:139], s[24:25]
	v_mul_f64 v[118:119], v[140:141], s[24:25]
	v_add_f64 v[146:147], v[62:63], -v[50:51]
	v_add_f64 v[150:151], v[60:61], -v[48:49]
	s_mov_b32 s6, 0x75d4884
	s_mov_b32 s20, 0x7c9e640b
	s_mov_b32 s7, 0x3fe7a5f6
	s_mov_b32 s21, 0xbfeca52d
	v_add_f64 v[69:70], v[0:1], v[69:70]
	v_add_f64 v[71:72], v[2:3], v[71:72]
	v_fma_f64 v[73:74], v[110:111], s[6:7], v[116:117]
	v_fma_f64 v[75:76], v[164:165], s[6:7], -v[118:119]
	v_add_f64 v[120:121], v[48:49], v[60:61]
	v_add_f64 v[176:177], v[50:51], v[62:63]
	v_mul_f64 v[122:123], v[146:147], s[20:21]
	v_mul_f64 v[124:125], v[150:151], s[20:21]
	v_add_f64 v[160:161], v[22:23], -v[34:35]
	v_add_f64 v[156:157], v[20:21], -v[32:33]
	s_mov_b32 s4, 0x2b2883cd
	s_mov_b32 s30, 0xeb564b22
	s_mov_b32 s5, 0x3fdc86fa
	s_mov_b32 s31, 0xbfefdd0d
	v_add_f64 v[69:70], v[73:74], v[69:70]
	v_add_f64 v[71:72], v[75:76], v[71:72]
	v_fma_f64 v[73:74], v[120:121], s[4:5], v[122:123]
	v_fma_f64 v[75:76], v[176:177], s[4:5], -v[124:125]
	v_add_f64 v[126:127], v[32:33], v[20:21]
	v_add_f64 v[184:185], v[34:35], v[22:23]
	v_mul_f64 v[128:129], v[160:161], s[30:31]
	v_mul_f64 v[132:133], v[156:157], s[30:31]
	v_add_f64 v[174:175], v[6:7], -v[42:43]
	v_add_f64 v[168:169], v[4:5], -v[40:41]
	s_mov_b32 s22, 0x3259b75e
	s_mov_b32 s28, 0x923c349f
	s_mov_b32 s23, 0x3fb79ee6
	s_mov_b32 s29, 0xbfeec746
	v_add_f64 v[69:70], v[73:74], v[69:70]
	v_add_f64 v[71:72], v[75:76], v[71:72]
	v_fma_f64 v[73:74], v[126:127], s[22:23], v[128:129]
	v_fma_f64 v[75:76], v[184:185], s[22:23], -v[132:133]
	v_add_f64 v[136:137], v[4:5], v[40:41]
	v_add_f64 v[188:189], v[6:7], v[42:43]
	v_mul_f64 v[142:143], v[174:175], s[28:29]
	v_mul_f64 v[144:145], v[168:169], s[28:29]
	v_add_f64 v[186:187], v[26:27], -v[38:39]
	v_add_f64 v[180:181], v[24:25], -v[36:37]
	s_mov_b32 s18, 0xc61f0d01
	s_mov_b32 s36, 0x6c9a05f6
	s_mov_b32 s19, 0xbfd183b1
	s_mov_b32 s37, 0xbfe9895b
	v_add_f64 v[69:70], v[73:74], v[69:70]
	v_add_f64 v[71:72], v[75:76], v[71:72]
	v_fma_f64 v[73:74], v[136:137], s[18:19], v[142:143]
	v_fma_f64 v[75:76], v[188:189], s[18:19], -v[144:145]
	v_add_f64 v[148:149], v[36:37], v[24:25]
	v_add_f64 v[194:195], v[38:39], v[26:27]
	v_mul_f64 v[152:153], v[186:187], s[36:37]
	v_mul_f64 v[154:155], v[180:181], s[36:37]
	v_add_f64 v[192:193], v[10:11], -v[18:19]
	v_add_f64 v[190:191], v[8:9], -v[16:17]
	s_mov_b32 s26, 0x6ed5f1bb
	s_mov_b32 s40, 0x4363dd80
	s_mov_b32 s27, 0xbfe348c8
	s_mov_b32 s41, 0xbfe0d888
	v_add_f64 v[69:70], v[73:74], v[69:70]
	v_add_f64 v[71:72], v[75:76], v[71:72]
	v_fma_f64 v[73:74], v[148:149], s[26:27], v[152:153]
	v_fma_f64 v[75:76], v[194:195], s[26:27], -v[154:155]
	v_add_f64 v[162:163], v[8:9], v[16:17]
	v_add_f64 v[200:201], v[10:11], v[18:19]
	v_mul_f64 v[166:167], v[192:193], s[40:41]
	v_mul_f64 v[170:171], v[190:191], s[40:41]
	v_add_f64 v[198:199], v[14:15], -v[30:31]
	v_add_f64 v[196:197], v[12:13], -v[28:29]
	s_mov_b32 s34, 0x910ea3b9
	s_mov_b32 s42, 0xacd6c6b4
	s_mov_b32 s35, 0xbfeb34fa
	s_mov_b32 s43, 0xbfc7851a
	v_add_f64 v[69:70], v[73:74], v[69:70]
	v_add_f64 v[71:72], v[75:76], v[71:72]
	v_fma_f64 v[73:74], v[162:163], s[34:35], v[166:167]
	v_fma_f64 v[75:76], v[200:201], s[34:35], -v[170:171]
	v_add_f64 v[172:173], v[12:13], v[28:29]
	v_add_f64 v[202:203], v[14:15], v[30:31]
	v_mul_f64 v[178:179], v[198:199], s[42:43]
	v_mul_f64 v[182:183], v[196:197], s[42:43]
	s_mov_b32 s38, 0x7faef3
	s_mov_b32 s39, 0xbfef7484
	v_add_f64 v[69:70], v[73:74], v[69:70]
	v_add_f64 v[71:72], v[75:76], v[71:72]
	s_barrier
	v_fma_f64 v[73:74], v[172:173], s[38:39], v[178:179]
	v_fma_f64 v[75:76], v[202:203], s[38:39], -v[182:183]
	v_add_f64 v[112:113], v[73:74], v[69:70]
	v_add_f64 v[114:115], v[75:76], v[71:72]
	s_mov_b64 s[16:17], exec
	s_and_b64 s[44:45], s[16:17], vcc
	buffer_store_dword v216, off, s[60:63], 0 ; 4-byte Folded Spill
	s_mov_b64 exec, s[44:45]
	s_cbranch_execz .LBB0_7
; %bb.6:
	v_mul_f64 v[69:70], v[158:159], s[38:39]
	s_mov_b32 s49, 0x3fc7851a
	s_mov_b32 s48, s42
	v_mul_f64 v[75:76], v[164:165], s[2:3]
	v_mul_f64 v[83:84], v[176:177], s[34:35]
	;; [unrolled: 1-line block ×3, first 2 shown]
	s_mov_b32 s47, 0x3fe0d888
	s_mov_b32 s46, s40
	v_fma_f64 v[77:78], v[134:135], s[48:49], v[69:70]
	s_mov_b32 s51, 0x3fd71e95
	s_mov_b32 s50, s10
	v_fma_f64 v[87:88], v[140:141], s[10:11], v[75:76]
	v_mul_f64 v[85:86], v[184:185], s[6:7]
	v_fma_f64 v[91:92], v[150:151], s[46:47], v[83:84]
	v_fma_f64 v[93:94], v[104:105], s[38:39], v[89:90]
	;; [unrolled: 1-line block ×3, first 2 shown]
	v_add_f64 v[77:78], v[2:3], v[77:78]
	v_mul_f64 v[81:82], v[188:189], s[26:27]
	v_fma_f64 v[89:90], v[104:105], s[38:39], -v[89:90]
	v_fma_f64 v[75:76], v[140:141], s[50:51], v[75:76]
	v_fma_f64 v[97:98], v[156:157], s[24:25], v[85:86]
	s_mov_b32 s55, 0x3fe9895b
	v_add_f64 v[93:94], v[0:1], v[93:94]
	v_add_f64 v[69:70], v[2:3], v[69:70]
	;; [unrolled: 1-line block ×3, first 2 shown]
	v_mul_f64 v[87:88], v[138:139], s[50:51]
	s_mov_b32 s54, s36
	s_mov_b32 s57, 0x3fe58eea
	;; [unrolled: 1-line block ×3, first 2 shown]
	v_mul_f64 v[79:80], v[194:195], s[4:5]
	v_mul_f64 v[204:205], v[160:161], s[56:57]
	v_fma_f64 v[206:207], v[168:169], s[54:55], v[81:82]
	v_add_f64 v[77:78], v[91:92], v[77:78]
	v_mul_f64 v[91:92], v[146:147], s[40:41]
	v_fma_f64 v[99:100], v[110:111], s[2:3], v[87:88]
	v_fma_f64 v[87:88], v[110:111], s[2:3], -v[87:88]
	v_add_f64 v[89:90], v[0:1], v[89:90]
	v_fma_f64 v[83:84], v[150:151], s[40:41], v[83:84]
	v_add_f64 v[69:70], v[75:76], v[69:70]
	v_mul_f64 v[95:96], v[174:175], s[36:37]
	v_add_f64 v[77:78], v[97:98], v[77:78]
	v_fma_f64 v[97:98], v[120:121], s[34:35], v[91:92]
	v_add_f64 v[93:94], v[99:100], v[93:94]
	v_fma_f64 v[99:100], v[180:181], s[20:21], v[79:80]
	v_fma_f64 v[208:209], v[126:127], s[6:7], v[204:205]
	v_fma_f64 v[91:92], v[120:121], s[34:35], -v[91:92]
	v_add_f64 v[87:88], v[87:88], v[89:90]
	v_fma_f64 v[85:86], v[156:157], s[56:57], v[85:86]
	v_add_f64 v[77:78], v[206:207], v[77:78]
	v_add_f64 v[69:70], v[83:84], v[69:70]
	;; [unrolled: 1-line block ×3, first 2 shown]
	s_mov_b32 s53, 0x3feca52d
	s_mov_b32 s52, s20
	v_mul_f64 v[73:74], v[200:201], s[18:19]
	v_mul_f64 v[101:102], v[186:187], s[52:53]
	v_fma_f64 v[97:98], v[136:137], s[26:27], v[95:96]
	v_add_f64 v[77:78], v[99:100], v[77:78]
	v_fma_f64 v[99:100], v[126:127], s[6:7], -v[204:205]
	v_add_f64 v[89:90], v[208:209], v[93:94]
	v_add_f64 v[87:88], v[91:92], v[87:88]
	v_fma_f64 v[81:82], v[168:169], s[36:37], v[81:82]
	v_add_f64 v[69:70], v[85:86], v[69:70]
	s_mov_b32 s45, 0x3feec746
	s_mov_b32 s44, s28
	v_mul_f64 v[71:72], v[202:203], s[22:23]
	v_fma_f64 v[75:76], v[190:191], s[44:45], v[73:74]
	v_mul_f64 v[83:84], v[192:193], s[28:29]
	v_fma_f64 v[93:94], v[148:149], s[4:5], v[101:102]
	v_add_f64 v[89:90], v[97:98], v[89:90]
	v_fma_f64 v[95:96], v[136:137], s[26:27], -v[95:96]
	v_add_f64 v[87:88], v[99:100], v[87:88]
	v_fma_f64 v[79:80], v[180:181], s[52:53], v[79:80]
	v_add_f64 v[69:70], v[81:82], v[69:70]
	s_mov_b32 s59, 0x3fefdd0d
	s_mov_b32 s58, s30
	v_mul_f64 v[85:86], v[198:199], s[58:59]
	v_fma_f64 v[91:92], v[162:163], s[18:19], v[83:84]
	v_add_f64 v[89:90], v[93:94], v[89:90]
	v_fma_f64 v[81:82], v[196:197], s[30:31], v[71:72]
	v_add_f64 v[75:76], v[75:76], v[77:78]
	v_fma_f64 v[93:94], v[148:149], s[4:5], -v[101:102]
	v_add_f64 v[87:88], v[95:96], v[87:88]
	v_fma_f64 v[73:74], v[190:191], s[28:29], v[73:74]
	v_add_f64 v[69:70], v[79:80], v[69:70]
	v_fma_f64 v[77:78], v[172:173], s[22:23], v[85:86]
	v_add_f64 v[89:90], v[91:92], v[89:90]
	v_mul_f64 v[97:98], v[138:139], s[52:53]
	v_add_f64 v[206:207], v[81:82], v[75:76]
	v_fma_f64 v[75:76], v[162:163], s[18:19], -v[83:84]
	v_add_f64 v[79:80], v[93:94], v[87:88]
	v_mul_f64 v[87:88], v[164:165], s[4:5]
	v_add_f64 v[69:70], v[73:74], v[69:70]
	v_mul_f64 v[73:74], v[158:159], s[34:35]
	;; [unrolled: 2-line block ×3, first 2 shown]
	v_mul_f64 v[210:211], v[184:185], s[26:27]
	v_mul_f64 v[214:215], v[146:147], s[30:31]
	v_add_f64 v[75:76], v[75:76], v[79:80]
	v_mul_f64 v[79:80], v[130:131], s[40:41]
	v_fma_f64 v[208:209], v[140:141], s[20:21], v[87:88]
	v_fma_f64 v[89:90], v[134:135], s[46:47], v[73:74]
	;; [unrolled: 1-line block ×5, first 2 shown]
	v_mul_f64 v[93:94], v[188:189], s[2:3]
	v_mul_f64 v[220:221], v[160:161], s[54:55]
	v_fma_f64 v[99:100], v[104:105], s[34:35], v[79:80]
	v_fma_f64 v[79:80], v[104:105], s[34:35], -v[79:80]
	v_add_f64 v[89:90], v[2:3], v[89:90]
	v_fma_f64 v[222:223], v[120:121], s[22:23], v[214:215]
	v_fma_f64 v[87:88], v[140:141], s[52:53], v[87:88]
	v_add_f64 v[73:74], v[2:3], v[73:74]
	v_fma_f64 v[97:98], v[110:111], s[4:5], -v[97:98]
	v_mul_f64 v[83:84], v[194:195], s[38:39]
	v_add_f64 v[99:100], v[0:1], v[99:100]
	v_add_f64 v[79:80], v[0:1], v[79:80]
	;; [unrolled: 1-line block ×3, first 2 shown]
	v_fma_f64 v[208:209], v[156:157], s[36:37], v[210:211]
	v_fma_f64 v[212:213], v[168:169], s[50:51], v[93:94]
	;; [unrolled: 1-line block ×3, first 2 shown]
	v_add_f64 v[73:74], v[87:88], v[73:74]
	v_fma_f64 v[95:96], v[180:181], s[48:49], v[83:84]
	v_add_f64 v[99:100], v[216:217], v[99:100]
	v_mul_f64 v[216:217], v[174:175], s[10:11]
	v_add_f64 v[89:90], v[218:219], v[89:90]
	v_fma_f64 v[218:219], v[126:127], s[26:27], v[220:221]
	v_add_f64 v[79:80], v[97:98], v[79:80]
	v_mul_f64 v[97:98], v[186:187], s[42:43]
	v_add_f64 v[73:74], v[101:102], v[73:74]
	v_fma_f64 v[101:102], v[126:127], s[26:27], -v[220:221]
	v_add_f64 v[99:100], v[222:223], v[99:100]
	v_mul_f64 v[77:78], v[200:201], s[6:7]
	v_add_f64 v[87:88], v[208:209], v[89:90]
	v_fma_f64 v[89:90], v[120:121], s[22:23], -v[214:215]
	v_fma_f64 v[208:209], v[136:137], s[2:3], v[216:217]
	v_fma_f64 v[210:211], v[156:157], s[54:55], v[210:211]
	;; [unrolled: 1-line block ×4, first 2 shown]
	v_add_f64 v[99:100], v[218:219], v[99:100]
	v_fma_f64 v[91:92], v[190:191], s[24:25], v[77:78]
	v_add_f64 v[87:88], v[212:213], v[87:88]
	v_add_f64 v[79:80], v[89:90], v[79:80]
	v_mul_f64 v[89:90], v[192:193], s[56:57]
	v_fma_f64 v[212:213], v[148:149], s[38:39], v[97:98]
	v_add_f64 v[73:74], v[210:211], v[73:74]
	v_fma_f64 v[97:98], v[148:149], s[38:39], -v[97:98]
	v_add_f64 v[99:100], v[208:209], v[99:100]
	v_fma_f64 v[81:82], v[172:173], s[22:23], -v[85:86]
	;; [unrolled: 2-line block ×3, first 2 shown]
	v_add_f64 v[79:80], v[101:102], v[79:80]
	v_mul_f64 v[101:102], v[198:199], s[28:29]
	v_fma_f64 v[208:209], v[162:163], s[6:7], v[89:90]
	v_mul_f64 v[85:86], v[202:203], s[18:19]
	v_add_f64 v[99:100], v[212:213], v[99:100]
	v_fma_f64 v[83:84], v[180:181], s[42:43], v[83:84]
	v_add_f64 v[73:74], v[93:94], v[73:74]
	v_add_f64 v[87:88], v[91:92], v[87:88]
	;; [unrolled: 1-line block ×3, first 2 shown]
	v_fma_f64 v[91:92], v[172:173], s[18:19], v[101:102]
	v_mul_f64 v[212:213], v[176:177], s[2:3]
	v_fma_f64 v[93:94], v[196:197], s[44:45], v[85:86]
	v_add_f64 v[99:100], v[208:209], v[99:100]
	v_fma_f64 v[208:209], v[190:191], s[56:57], v[77:78]
	v_add_f64 v[78:79], v[71:72], v[69:70]
	v_fma_f64 v[69:70], v[162:163], s[6:7], -v[89:90]
	v_add_f64 v[89:90], v[97:98], v[95:96]
	v_add_f64 v[83:84], v[83:84], v[73:74]
	;; [unrolled: 1-line block ×5, first 2 shown]
	v_fma_f64 v[80:81], v[196:197], s[28:29], v[85:86]
	v_fma_f64 v[86:87], v[172:173], s[18:19], -v[101:102]
	v_mul_f64 v[100:101], v[130:131], s[36:37]
	v_add_f64 v[69:70], v[69:70], v[89:90]
	v_mul_f64 v[90:91], v[158:159], s[26:27]
	v_mul_f64 v[102:103], v[164:165], s[18:19]
	;; [unrolled: 1-line block ×4, first 2 shown]
	v_fma_f64 v[224:225], v[150:151], s[50:51], v[212:213]
	v_mul_f64 v[226:227], v[146:147], s[10:11]
	v_fma_f64 v[220:221], v[104:105], s[26:27], v[100:101]
	v_fma_f64 v[100:101], v[104:105], s[26:27], -v[100:101]
	v_fma_f64 v[210:211], v[134:135], s[54:55], v[90:91]
	v_fma_f64 v[222:223], v[140:141], s[28:29], v[102:103]
	;; [unrolled: 1-line block ×5, first 2 shown]
	v_fma_f64 v[218:219], v[110:111], s[18:19], -v[218:219]
	v_mul_f64 v[94:95], v[188:189], s[22:23]
	v_add_f64 v[100:101], v[0:1], v[100:101]
	v_add_f64 v[210:211], v[2:3], v[210:211]
	v_fma_f64 v[216:217], v[156:157], s[46:47], v[96:97]
	v_add_f64 v[90:91], v[2:3], v[90:91]
	v_add_f64 v[220:221], v[0:1], v[220:221]
	v_fma_f64 v[212:213], v[150:151], s[10:11], v[212:213]
	v_mul_f64 v[88:89], v[194:195], s[6:7]
	v_fma_f64 v[214:215], v[168:169], s[30:31], v[94:95]
	v_add_f64 v[100:101], v[218:219], v[100:101]
	v_add_f64 v[210:211], v[222:223], v[210:211]
	v_mul_f64 v[222:223], v[160:161], s[40:41]
	v_add_f64 v[90:91], v[102:103], v[90:91]
	v_fma_f64 v[230:231], v[120:121], s[2:3], v[226:227]
	v_add_f64 v[220:221], v[228:229], v[220:221]
	v_mul_f64 v[218:219], v[174:175], s[58:59]
	v_fma_f64 v[96:97], v[156:157], s[40:41], v[96:97]
	v_add_f64 v[82:83], v[208:209], v[83:84]
	v_add_f64 v[102:103], v[224:225], v[210:211]
	v_fma_f64 v[210:211], v[120:121], s[2:3], -v[226:227]
	v_add_f64 v[90:91], v[212:213], v[90:91]
	v_fma_f64 v[212:213], v[126:127], s[34:35], -v[222:223]
	v_fma_f64 v[208:209], v[180:181], s[56:57], v[88:89]
	v_fma_f64 v[224:225], v[126:127], s[34:35], v[222:223]
	v_add_f64 v[220:221], v[230:231], v[220:221]
	v_fma_f64 v[94:95], v[168:169], s[58:59], v[94:95]
	v_add_f64 v[102:103], v[216:217], v[102:103]
	v_add_f64 v[100:101], v[210:211], v[100:101]
	v_mul_f64 v[210:211], v[186:187], s[24:25]
	v_add_f64 v[90:91], v[96:97], v[90:91]
	v_mul_f64 v[84:85], v[200:201], s[38:39]
	v_fma_f64 v[216:217], v[136:137], s[22:23], v[218:219]
	v_add_f64 v[220:221], v[224:225], v[220:221]
	v_fma_f64 v[88:89], v[180:181], s[24:25], v[88:89]
	v_add_f64 v[96:97], v[214:215], v[102:103]
	v_fma_f64 v[102:103], v[136:137], s[22:23], -v[218:219]
	v_add_f64 v[100:101], v[212:213], v[100:101]
	v_mul_f64 v[212:213], v[192:193], s[42:43]
	v_add_f64 v[90:91], v[94:95], v[90:91]
	v_mul_f64 v[92:93], v[202:203], s[4:5]
	v_fma_f64 v[98:99], v[190:191], s[48:49], v[84:85]
	v_fma_f64 v[214:215], v[148:149], s[6:7], v[210:211]
	v_add_f64 v[94:95], v[208:209], v[96:97]
	v_fma_f64 v[96:97], v[148:149], s[6:7], -v[210:211]
	v_add_f64 v[100:101], v[102:103], v[100:101]
	v_add_f64 v[216:217], v[216:217], v[220:221]
	v_mul_f64 v[102:103], v[198:199], s[52:53]
	v_fma_f64 v[208:209], v[162:163], s[38:39], v[212:213]
	v_fma_f64 v[84:85], v[190:191], s[42:43], v[84:85]
	v_add_f64 v[88:89], v[88:89], v[90:91]
	v_fma_f64 v[212:213], v[162:163], s[38:39], -v[212:213]
	v_fma_f64 v[90:91], v[196:197], s[20:21], v[92:93]
	v_add_f64 v[96:97], v[96:97], v[100:101]
	v_add_f64 v[210:211], v[214:215], v[216:217]
	;; [unrolled: 1-line block ×3, first 2 shown]
	v_fma_f64 v[98:99], v[172:173], s[4:5], v[102:103]
	v_fma_f64 v[92:93], v[196:197], s[52:53], v[92:93]
	v_add_f64 v[88:89], v[84:85], v[88:89]
	v_fma_f64 v[102:103], v[172:173], s[4:5], -v[102:103]
	v_add_f64 v[82:83], v[80:81], v[82:83]
	v_add_f64 v[96:97], v[212:213], v[96:97]
	;; [unrolled: 1-line block ×4, first 2 shown]
	v_mul_f64 v[69:70], v[158:159], s[18:19]
	v_add_f64 v[86:87], v[90:91], v[94:95]
	v_add_f64 v[90:91], v[92:93], v[88:89]
	v_mul_f64 v[94:95], v[164:165], s[34:35]
	v_mul_f64 v[214:215], v[138:139], s[46:47]
	v_add_f64 v[88:89], v[102:103], v[96:97]
	v_mul_f64 v[96:97], v[130:131], s[28:29]
	v_add_f64 v[84:85], v[98:99], v[100:101]
	v_fma_f64 v[98:99], v[134:135], s[44:45], v[69:70]
	v_mul_f64 v[208:209], v[176:177], s[6:7]
	v_fma_f64 v[69:70], v[134:135], s[28:29], v[69:70]
	v_fma_f64 v[212:213], v[140:141], s[40:41], v[94:95]
	v_mul_f64 v[224:225], v[146:147], s[56:57]
	v_fma_f64 v[226:227], v[110:111], s[34:35], v[214:215]
	v_fma_f64 v[216:217], v[104:105], s[18:19], v[96:97]
	v_mul_f64 v[220:221], v[184:185], s[4:5]
	v_add_f64 v[98:99], v[2:3], v[98:99]
	v_fma_f64 v[222:223], v[150:151], s[24:25], v[208:209]
	v_fma_f64 v[94:95], v[140:141], s[46:47], v[94:95]
	v_add_f64 v[69:70], v[2:3], v[69:70]
	v_mul_f64 v[230:231], v[160:161], s[20:21]
	v_fma_f64 v[232:233], v[120:121], s[6:7], v[224:225]
	v_add_f64 v[216:217], v[0:1], v[216:217]
	v_fma_f64 v[228:229], v[156:157], s[52:53], v[220:221]
	v_add_f64 v[98:99], v[212:213], v[98:99]
	v_mul_f64 v[212:213], v[188:189], s[38:39]
	v_fma_f64 v[208:209], v[150:151], s[56:57], v[208:209]
	v_fma_f64 v[96:97], v[104:105], s[18:19], -v[96:97]
	v_add_f64 v[69:70], v[94:95], v[69:70]
	v_mul_f64 v[94:95], v[174:175], s[42:43]
	v_add_f64 v[216:217], v[226:227], v[216:217]
	v_fma_f64 v[226:227], v[126:127], s[4:5], v[230:231]
	v_add_f64 v[98:99], v[222:223], v[98:99]
	v_mul_f64 v[100:101], v[194:195], s[22:23]
	v_fma_f64 v[222:223], v[168:169], s[48:49], v[212:213]
	v_fma_f64 v[220:221], v[156:157], s[20:21], v[220:221]
	v_fma_f64 v[214:215], v[110:111], s[34:35], -v[214:215]
	v_add_f64 v[96:97], v[0:1], v[96:97]
	v_add_f64 v[216:217], v[232:233], v[216:217]
	;; [unrolled: 1-line block ×4, first 2 shown]
	v_mul_f64 v[208:209], v[186:187], s[58:59]
	v_fma_f64 v[228:229], v[136:137], s[38:39], v[94:95]
	v_mul_f64 v[92:93], v[200:201], s[2:3]
	v_fma_f64 v[218:219], v[180:181], s[30:31], v[100:101]
	v_fma_f64 v[212:213], v[168:169], s[42:43], v[212:213]
	v_add_f64 v[216:217], v[226:227], v[216:217]
	v_add_f64 v[96:97], v[214:215], v[96:97]
	;; [unrolled: 1-line block ×3, first 2 shown]
	v_fma_f64 v[222:223], v[120:121], s[6:7], -v[224:225]
	v_add_f64 v[69:70], v[220:221], v[69:70]
	v_mul_f64 v[214:215], v[192:193], s[10:11]
	v_fma_f64 v[220:221], v[148:149], s[22:23], v[208:209]
	v_fma_f64 v[210:211], v[190:191], s[50:51], v[92:93]
	v_add_f64 v[216:217], v[228:229], v[216:217]
	v_fma_f64 v[100:101], v[180:181], s[58:59], v[100:101]
	v_add_f64 v[98:99], v[218:219], v[98:99]
	v_fma_f64 v[218:219], v[126:127], s[4:5], -v[230:231]
	v_add_f64 v[96:97], v[222:223], v[96:97]
	v_add_f64 v[69:70], v[212:213], v[69:70]
	v_mul_f64 v[212:213], v[198:199], s[36:37]
	v_fma_f64 v[222:223], v[162:163], s[2:3], v[214:215]
	v_add_f64 v[216:217], v[220:221], v[216:217]
	v_mul_f64 v[102:103], v[202:203], s[26:27]
	v_fma_f64 v[92:93], v[190:191], s[10:11], v[92:93]
	v_fma_f64 v[94:95], v[136:137], s[38:39], -v[94:95]
	v_add_f64 v[96:97], v[218:219], v[96:97]
	v_add_f64 v[69:70], v[100:101], v[69:70]
	;; [unrolled: 1-line block ×3, first 2 shown]
	v_fma_f64 v[100:101], v[172:173], s[26:27], v[212:213]
	v_add_f64 v[210:211], v[222:223], v[216:217]
	v_fma_f64 v[220:221], v[196:197], s[54:55], v[102:103]
	v_mul_f64 v[216:217], v[158:159], s[22:23]
	v_fma_f64 v[208:209], v[148:149], s[22:23], -v[208:209]
	v_add_f64 v[96:97], v[94:95], v[96:97]
	v_add_f64 v[69:70], v[92:93], v[69:70]
	v_fma_f64 v[102:103], v[196:197], s[36:37], v[102:103]
	v_mul_f64 v[218:219], v[164:165], s[38:39]
	v_add_f64 v[92:93], v[100:101], v[210:211]
	v_mul_f64 v[100:101], v[130:131], s[30:31]
	v_add_f64 v[94:95], v[220:221], v[98:99]
	v_fma_f64 v[210:211], v[134:135], s[58:59], v[216:217]
	v_add_f64 v[96:97], v[208:209], v[96:97]
	v_mul_f64 v[208:209], v[138:139], s[42:43]
	v_fma_f64 v[214:215], v[162:163], s[2:3], -v[214:215]
	v_add_f64 v[98:99], v[102:103], v[69:70]
	v_mul_f64 v[69:70], v[176:177], s[18:19]
	v_fma_f64 v[220:221], v[104:105], s[22:23], v[100:101]
	v_fma_f64 v[102:103], v[140:141], s[48:49], v[218:219]
	v_add_f64 v[210:211], v[2:3], v[210:211]
	v_mul_f64 v[224:225], v[146:147], s[44:45]
	v_fma_f64 v[226:227], v[110:111], s[38:39], v[208:209]
	v_add_f64 v[96:97], v[214:215], v[96:97]
	v_mul_f64 v[214:215], v[184:185], s[2:3]
	v_fma_f64 v[222:223], v[150:151], s[28:29], v[69:70]
	v_add_f64 v[220:221], v[0:1], v[220:221]
	v_fma_f64 v[216:217], v[134:135], s[30:31], v[216:217]
	v_add_f64 v[102:103], v[102:103], v[210:211]
	v_mul_f64 v[232:233], v[160:161], s[50:51]
	v_fma_f64 v[234:235], v[120:121], s[18:19], v[224:225]
	v_mul_f64 v[228:229], v[188:189], s[4:5]
	v_fma_f64 v[230:231], v[156:157], s[10:11], v[214:215]
	v_fma_f64 v[218:219], v[140:141], s[42:43], v[218:219]
	v_add_f64 v[220:221], v[226:227], v[220:221]
	v_add_f64 v[216:217], v[2:3], v[216:217]
	;; [unrolled: 1-line block ×3, first 2 shown]
	v_mul_f64 v[236:237], v[174:175], s[20:21]
	v_fma_f64 v[238:239], v[126:127], s[2:3], v[232:233]
	v_mul_f64 v[222:223], v[194:195], s[34:35]
	v_fma_f64 v[226:227], v[168:169], s[52:53], v[228:229]
	v_fma_f64 v[69:70], v[150:151], s[44:45], v[69:70]
	v_add_f64 v[220:221], v[234:235], v[220:221]
	v_add_f64 v[216:217], v[218:219], v[216:217]
	;; [unrolled: 1-line block ×3, first 2 shown]
	v_mul_f64 v[218:219], v[186:187], s[40:41]
	v_fma_f64 v[240:241], v[136:137], s[4:5], v[236:237]
	v_fma_f64 v[100:101], v[104:105], s[22:23], -v[100:101]
	v_fma_f64 v[234:235], v[180:181], s[46:47], v[222:223]
	v_fma_f64 v[214:215], v[156:157], s[50:51], v[214:215]
	v_add_f64 v[220:221], v[238:239], v[220:221]
	v_add_f64 v[69:70], v[69:70], v[216:217]
	v_add_f64 v[102:103], v[226:227], v[102:103]
	v_mul_f64 v[216:217], v[192:193], s[54:55]
	v_fma_f64 v[238:239], v[148:149], s[34:35], v[218:219]
	v_fma_f64 v[208:209], v[110:111], s[38:39], -v[208:209]
	v_add_f64 v[100:101], v[0:1], v[100:101]
	v_fma_f64 v[212:213], v[172:173], s[26:27], -v[212:213]
	v_add_f64 v[220:221], v[240:241], v[220:221]
	v_mul_f64 v[230:231], v[200:201], s[26:27]
	v_add_f64 v[102:103], v[234:235], v[102:103]
	v_fma_f64 v[228:229], v[168:169], s[20:21], v[228:229]
	v_add_f64 v[69:70], v[214:215], v[69:70]
	v_mul_f64 v[214:215], v[198:199], s[56:57]
	v_fma_f64 v[234:235], v[162:163], s[26:27], v[216:217]
	v_fma_f64 v[224:225], v[120:121], s[18:19], -v[224:225]
	v_add_f64 v[220:221], v[238:239], v[220:221]
	v_add_f64 v[100:101], v[208:209], v[100:101]
	v_fma_f64 v[226:227], v[190:191], s[36:37], v[230:231]
	v_fma_f64 v[208:209], v[180:181], s[40:41], v[222:223]
	v_add_f64 v[69:70], v[228:229], v[69:70]
	v_fma_f64 v[222:223], v[172:173], s[6:7], v[214:215]
	v_add_f64 v[96:97], v[212:213], v[96:97]
	v_fma_f64 v[212:213], v[126:127], s[2:3], -v[232:233]
	v_add_f64 v[220:221], v[234:235], v[220:221]
	v_add_f64 v[224:225], v[224:225], v[100:101]
	;; [unrolled: 1-line block ×3, first 2 shown]
	v_fma_f64 v[226:227], v[190:191], s[54:55], v[230:231]
	v_add_f64 v[69:70], v[208:209], v[69:70]
	v_mul_f64 v[228:229], v[158:159], s[4:5]
	v_fma_f64 v[208:209], v[136:137], s[4:5], -v[236:237]
	v_mul_f64 v[210:211], v[202:203], s[6:7]
	v_add_f64 v[100:101], v[222:223], v[220:221]
	v_mul_f64 v[220:221], v[130:131], s[20:21]
	v_add_f64 v[212:213], v[212:213], v[224:225]
	;; [unrolled: 2-line block ×3, first 2 shown]
	v_fma_f64 v[224:225], v[134:135], s[52:53], v[228:229]
	v_fma_f64 v[218:219], v[148:149], s[34:35], -v[218:219]
	v_mul_f64 v[226:227], v[138:139], s[36:37]
	v_fma_f64 v[238:239], v[196:197], s[24:25], v[210:211]
	v_fma_f64 v[230:231], v[104:105], s[4:5], v[220:221]
	v_add_f64 v[208:209], v[208:209], v[212:213]
	v_fma_f64 v[212:213], v[162:163], s[26:27], -v[216:217]
	v_mul_f64 v[216:217], v[176:177], s[38:39]
	v_fma_f64 v[232:233], v[140:141], s[54:55], v[222:223]
	v_add_f64 v[224:225], v[2:3], v[224:225]
	v_mul_f64 v[234:235], v[146:147], s[48:49]
	v_fma_f64 v[236:237], v[110:111], s[26:27], v[226:227]
	v_add_f64 v[230:231], v[0:1], v[230:231]
	v_add_f64 v[208:209], v[218:219], v[208:209]
	;; [unrolled: 1-line block ×4, first 2 shown]
	v_fma_f64 v[210:211], v[196:197], s[56:57], v[210:211]
	v_fma_f64 v[214:215], v[172:173], s[6:7], -v[214:215]
	v_mul_f64 v[218:219], v[184:185], s[18:19]
	v_fma_f64 v[238:239], v[150:151], s[42:43], v[216:217]
	v_add_f64 v[224:225], v[232:233], v[224:225]
	v_mul_f64 v[232:233], v[160:161], s[44:45]
	v_fma_f64 v[240:241], v[120:121], s[38:39], v[234:235]
	v_add_f64 v[230:231], v[236:237], v[230:231]
	v_add_f64 v[208:209], v[212:213], v[208:209]
	v_fma_f64 v[220:221], v[104:105], s[4:5], -v[220:221]
	v_add_f64 v[56:57], v[56:57], v[64:65]
	v_add_f64 v[66:67], v[2:3], v[66:67]
	;; [unrolled: 1-line block ×3, first 2 shown]
	v_mul_f64 v[69:70], v[188:189], s[6:7]
	v_fma_f64 v[212:213], v[156:157], s[28:29], v[218:219]
	v_add_f64 v[224:225], v[238:239], v[224:225]
	v_mul_f64 v[236:237], v[174:175], s[56:57]
	v_fma_f64 v[238:239], v[126:127], s[18:19], v[232:233]
	v_add_f64 v[230:231], v[240:241], v[230:231]
	v_add_f64 v[208:209], v[214:215], v[208:209]
	v_fma_f64 v[214:215], v[134:135], s[20:21], v[228:229]
	v_fma_f64 v[226:227], v[110:111], s[26:27], -v[226:227]
	v_add_f64 v[220:221], v[0:1], v[220:221]
	v_add_f64 v[60:61], v[60:61], v[56:57]
	;; [unrolled: 1-line block ×3, first 2 shown]
	v_mul_f64 v[240:241], v[194:195], s[2:3]
	v_fma_f64 v[228:229], v[168:169], s[24:25], v[69:70]
	v_add_f64 v[212:213], v[212:213], v[224:225]
	v_fma_f64 v[242:243], v[136:137], s[6:7], v[236:237]
	v_add_f64 v[230:231], v[238:239], v[230:231]
	v_mul_f64 v[238:239], v[186:187], s[10:11]
	v_fma_f64 v[222:223], v[140:141], s[36:37], v[222:223]
	v_add_f64 v[214:215], v[2:3], v[214:215]
	v_add_f64 v[220:221], v[226:227], v[220:221]
	v_fma_f64 v[234:235], v[120:121], s[38:39], -v[234:235]
	v_add_f64 v[20:21], v[20:21], v[60:61]
	v_add_f64 v[58:59], v[62:63], v[58:59]
	v_mul_f64 v[224:225], v[200:201], s[22:23]
	v_fma_f64 v[244:245], v[180:181], s[50:51], v[240:241]
	v_add_f64 v[212:213], v[228:229], v[212:213]
	v_mul_f64 v[228:229], v[192:193], s[30:31]
	v_add_f64 v[230:231], v[242:243], v[230:231]
	v_fma_f64 v[242:243], v[148:149], s[2:3], v[238:239]
	v_fma_f64 v[216:217], v[150:151], s[48:49], v[216:217]
	v_add_f64 v[214:215], v[222:223], v[214:215]
	v_add_f64 v[220:221], v[234:235], v[220:221]
	v_fma_f64 v[232:233], v[126:127], s[18:19], -v[232:233]
	v_add_f64 v[4:5], v[4:5], v[20:21]
	v_add_f64 v[22:23], v[22:23], v[58:59]
	v_mul_f64 v[222:223], v[202:203], s[34:35]
	v_add_f64 v[212:213], v[244:245], v[212:213]
	v_fma_f64 v[244:245], v[190:191], s[58:59], v[224:225]
	v_add_f64 v[230:231], v[242:243], v[230:231]
	v_fma_f64 v[242:243], v[162:163], s[22:23], v[228:229]
	v_mul_f64 v[226:227], v[198:199], s[40:41]
	v_add_f64 v[214:215], v[216:217], v[214:215]
	v_fma_f64 v[218:219], v[156:157], s[44:45], v[218:219]
	v_fma_f64 v[236:237], v[136:137], s[6:7], -v[236:237]
	v_add_f64 v[220:221], v[232:233], v[220:221]
	v_add_f64 v[4:5], v[24:25], v[4:5]
	v_add_f64 v[6:7], v[6:7], v[22:23]
	v_add_f64 v[212:213], v[244:245], v[212:213]
	v_fma_f64 v[244:245], v[196:197], s[46:47], v[222:223]
	v_add_f64 v[230:231], v[242:243], v[230:231]
	v_fma_f64 v[242:243], v[172:173], s[34:35], v[226:227]
	v_mul_f64 v[234:235], v[158:159], s[2:3]
	v_add_f64 v[218:219], v[218:219], v[214:215]
	v_fma_f64 v[69:70], v[168:169], s[56:57], v[69:70]
	v_add_f64 v[220:221], v[236:237], v[220:221]
	v_fma_f64 v[236:237], v[148:149], s[2:3], -v[238:239]
	v_mul_f64 v[158:159], v[158:159], s[6:7]
	v_mul_f64 v[216:217], v[104:105], s[2:3]
	v_add_f64 v[4:5], v[8:9], v[4:5]
	v_add_f64 v[6:7], v[26:27], v[6:7]
	;; [unrolled: 1-line block ×4, first 2 shown]
	v_mul_f64 v[230:231], v[164:165], s[6:7]
	v_add_f64 v[69:70], v[69:70], v[218:219]
	v_fma_f64 v[240:241], v[180:181], s[10:11], v[240:241]
	v_add_f64 v[220:221], v[236:237], v[220:221]
	v_mul_f64 v[164:165], v[164:165], s[22:23]
	v_fma_f64 v[236:237], v[134:135], s[56:57], v[158:159]
	v_add_f64 v[4:5], v[12:13], v[4:5]
	v_add_f64 v[12:13], v[216:217], -v[106:107]
	buffer_load_dword v216, off, s[60:63], 0 ; 4-byte Folded Reload
	v_add_f64 v[6:7], v[10:11], v[6:7]
	v_mul_f64 v[242:243], v[176:177], s[4:5]
	v_add_f64 v[69:70], v[240:241], v[69:70]
	v_fma_f64 v[224:225], v[190:191], s[30:31], v[224:225]
	v_fma_f64 v[56:57], v[140:141], s[58:59], v[164:165]
	v_add_f64 v[236:237], v[2:3], v[236:237]
	v_mul_f64 v[176:177], v[176:177], s[26:27]
	v_mul_f64 v[130:131], v[130:131], s[24:25]
	v_fma_f64 v[134:135], v[134:135], s[24:25], v[158:159]
	v_add_f64 v[6:7], v[14:15], v[6:7]
	v_mul_f64 v[246:247], v[110:111], s[6:7]
	v_add_f64 v[108:109], v[108:109], v[234:235]
	v_add_f64 v[69:70], v[224:225], v[69:70]
	;; [unrolled: 1-line block ×3, first 2 shown]
	v_fma_f64 v[236:237], v[150:151], s[54:55], v[176:177]
	v_fma_f64 v[222:223], v[196:197], s[40:41], v[222:223]
	v_mul_f64 v[138:139], v[138:139], s[30:31]
	v_fma_f64 v[244:245], v[104:105], s[6:7], v[130:131]
	v_fma_f64 v[14:15], v[104:105], s[6:7], -v[130:131]
	v_fma_f64 v[140:141], v[140:141], s[30:31], v[164:165]
	v_add_f64 v[134:135], v[2:3], v[134:135]
	v_add_f64 v[6:7], v[30:31], v[6:7]
	;; [unrolled: 1-line block ×3, first 2 shown]
	v_mul_f64 v[232:233], v[120:121], s[4:5]
	v_add_f64 v[106:107], v[118:119], v[230:231]
	v_add_f64 v[2:3], v[2:3], v[108:109]
	v_add_f64 v[108:109], v[246:247], -v[116:117]
	v_add_f64 v[12:13], v[0:1], v[12:13]
	v_add_f64 v[236:237], v[236:237], v[56:57]
	;; [unrolled: 1-line block ×4, first 2 shown]
	v_mul_f64 v[146:147], v[146:147], s[36:37]
	v_fma_f64 v[104:105], v[110:111], s[22:23], -v[138:139]
	v_add_f64 v[0:1], v[0:1], v[14:15]
	v_add_f64 v[134:135], v[140:141], v[134:135]
	v_fma_f64 v[140:141], v[110:111], s[22:23], v[138:139]
	v_add_f64 v[6:7], v[18:19], v[6:7]
	v_add_f64 v[4:5], v[16:17], v[4:5]
	v_mul_f64 v[218:219], v[126:127], s[22:23]
	v_mul_f64 v[238:239], v[184:185], s[22:23]
	v_add_f64 v[28:29], v[124:125], v[242:243]
	v_add_f64 v[2:3], v[106:107], v[2:3]
	v_add_f64 v[30:31], v[232:233], -v[122:123]
	v_add_f64 v[12:13], v[108:109], v[12:13]
	v_mul_f64 v[184:185], v[184:185], s[38:39]
	v_fma_f64 v[150:151], v[150:151], s[36:37], v[176:177]
	v_mul_f64 v[160:161], v[160:161], s[42:43]
	v_fma_f64 v[14:15], v[120:121], s[26:27], -v[146:147]
	v_add_f64 v[0:1], v[104:105], v[0:1]
	v_add_f64 v[140:141], v[140:141], v[222:223]
	v_fma_f64 v[222:223], v[120:121], s[26:27], v[146:147]
	v_add_f64 v[6:7], v[38:39], v[6:7]
	v_add_f64 v[4:5], v[36:37], v[4:5]
	v_mul_f64 v[64:65], v[136:137], s[18:19]
	v_mul_f64 v[66:67], v[188:189], s[18:19]
	v_add_f64 v[18:19], v[132:133], v[238:239]
	v_add_f64 v[2:3], v[28:29], v[2:3]
	v_add_f64 v[28:29], v[218:219], -v[128:129]
	v_add_f64 v[12:13], v[30:31], v[12:13]
	v_fma_f64 v[176:177], v[156:157], s[48:49], v[184:185]
	v_mul_f64 v[188:189], v[188:189], s[34:35]
	v_fma_f64 v[156:157], v[156:157], s[42:43], v[184:185]
	v_add_f64 v[134:135], v[150:151], v[134:135]
	v_mul_f64 v[60:61], v[174:175], s[46:47]
	v_fma_f64 v[16:17], v[126:127], s[38:39], -v[160:161]
	v_add_f64 v[0:1], v[14:15], v[0:1]
	v_fma_f64 v[174:175], v[126:127], s[38:39], v[160:161]
	v_add_f64 v[140:141], v[222:223], v[140:141]
	v_add_f64 v[6:7], v[42:43], v[6:7]
	;; [unrolled: 1-line block ×3, first 2 shown]
	v_mul_f64 v[240:241], v[148:149], s[26:27]
	v_fma_f64 v[228:229], v[162:163], s[22:23], -v[228:229]
	v_mul_f64 v[62:63], v[194:195], s[26:27]
	v_mul_f64 v[20:21], v[186:187], s[44:45]
	v_add_f64 v[30:31], v[144:145], v[66:67]
	v_add_f64 v[2:3], v[18:19], v[2:3]
	v_add_f64 v[18:19], v[64:65], -v[142:143]
	v_add_f64 v[12:13], v[28:29], v[12:13]
	v_mul_f64 v[194:195], v[194:195], s[18:19]
	v_fma_f64 v[184:185], v[168:169], s[40:41], v[188:189]
	v_fma_f64 v[168:169], v[168:169], s[46:47], v[188:189]
	v_add_f64 v[134:135], v[156:157], v[134:135]
	v_fma_f64 v[14:15], v[136:137], s[34:35], -v[60:61]
	v_add_f64 v[0:1], v[16:17], v[0:1]
	v_add_f64 v[176:177], v[176:177], v[236:237]
	v_fma_f64 v[22:23], v[136:137], s[34:35], v[60:61]
	v_add_f64 v[140:141], v[174:175], v[140:141]
	v_add_f64 v[6:7], v[34:35], v[6:7]
	;; [unrolled: 1-line block ×3, first 2 shown]
	v_mul_f64 v[224:225], v[162:163], s[34:35]
	v_add_f64 v[220:221], v[228:229], v[220:221]
	v_mul_f64 v[228:229], v[200:201], s[34:35]
	v_fma_f64 v[26:27], v[148:149], s[18:19], v[20:21]
	v_fma_f64 v[16:17], v[148:149], s[18:19], -v[20:21]
	v_add_f64 v[20:21], v[154:155], v[62:63]
	v_add_f64 v[2:3], v[30:31], v[2:3]
	v_add_f64 v[28:29], v[240:241], -v[152:153]
	v_add_f64 v[12:13], v[18:19], v[12:13]
	v_mul_f64 v[200:201], v[200:201], s[4:5]
	v_fma_f64 v[156:157], v[180:181], s[44:45], v[194:195]
	v_add_f64 v[134:135], v[168:169], v[134:135]
	v_mul_f64 v[24:25], v[192:193], s[52:53]
	v_add_f64 v[0:1], v[14:15], v[0:1]
	v_fma_f64 v[58:59], v[180:181], s[28:29], v[194:195]
	v_add_f64 v[176:177], v[184:185], v[176:177]
	v_add_f64 v[22:23], v[22:23], v[140:141]
	;; [unrolled: 1-line block ×4, first 2 shown]
	v_mul_f64 v[158:159], v[172:173], s[38:39]
	v_mul_f64 v[164:165], v[202:203], s[2:3]
	;; [unrolled: 1-line block ×3, first 2 shown]
	v_add_f64 v[18:19], v[170:171], v[228:229]
	v_add_f64 v[2:3], v[20:21], v[2:3]
	v_add_f64 v[20:21], v[224:225], -v[166:167]
	v_add_f64 v[12:13], v[28:29], v[12:13]
	v_fma_f64 v[140:141], v[190:191], s[52:53], v[200:201]
	v_add_f64 v[134:135], v[156:157], v[134:135]
	v_mul_f64 v[8:9], v[198:199], s[50:51]
	v_fma_f64 v[14:15], v[162:163], s[4:5], -v[24:25]
	v_add_f64 v[0:1], v[16:17], v[0:1]
	v_fma_f64 v[150:151], v[190:191], s[20:21], v[200:201]
	v_add_f64 v[58:59], v[58:59], v[176:177]
	v_fma_f64 v[10:11], v[162:163], s[4:5], v[24:25]
	v_add_f64 v[22:23], v[26:27], v[22:23]
	v_add_f64 v[30:31], v[46:47], v[6:7]
	;; [unrolled: 1-line block ×5, first 2 shown]
	v_add_f64 v[28:29], v[158:159], -v[178:179]
	v_add_f64 v[12:13], v[20:21], v[12:13]
	v_fma_f64 v[26:27], v[196:197], s[50:51], v[164:165]
	v_add_f64 v[134:135], v[140:141], v[134:135]
	v_fma_f64 v[16:17], v[172:173], s[2:3], -v[8:9]
	v_add_f64 v[0:1], v[14:15], v[0:1]
	v_fma_f64 v[69:70], v[172:173], s[34:35], -v[226:227]
	v_fma_f64 v[226:227], v[196:197], s[10:11], v[164:165]
	v_add_f64 v[58:59], v[150:151], v[58:59]
	v_fma_f64 v[20:21], v[172:173], s[2:3], v[8:9]
	v_add_f64 v[22:23], v[10:11], v[22:23]
	v_add_f64 v[10:11], v[54:55], v[30:31]
	;; [unrolled: 1-line block ×8, first 2 shown]
	s_waitcnt vmcnt(0)
	v_mul_lo_u16_e32 v16, 17, v216
	v_lshlrev_b32_e32 v16, 4, v16
	v_add_f64 v[14:15], v[226:227], v[58:59]
	v_add_f64 v[12:13], v[20:21], v[22:23]
	ds_write_b128 v16, v[8:11]
	ds_write_b128 v16, v[4:7] offset:16
	ds_write_b128 v16, v[0:3] offset:32
	ds_write_b128 v16, v[54:57] offset:48
	ds_write_b128 v16, v[208:211] offset:64
	ds_write_b128 v16, v[96:99] offset:80
	ds_write_b128 v16, v[88:91] offset:96
	ds_write_b128 v16, v[80:83] offset:112
	ds_write_b128 v16, v[76:79] offset:128
	ds_write_b128 v16, v[204:207] offset:144
	ds_write_b128 v16, v[72:75] offset:160
	ds_write_b128 v16, v[84:87] offset:176
	ds_write_b128 v16, v[92:95] offset:192
	ds_write_b128 v16, v[100:103] offset:208
	ds_write_b128 v16, v[212:215] offset:224
	ds_write_b128 v16, v[12:15] offset:240
	ds_write_b128 v16, v[112:115] offset:256
.LBB0_7:
	s_or_b64 exec, exec, s[16:17]
	s_movk_i32 s16, 0xcc
	s_load_dwordx4 s[4:7], s[0:1], 0x0
	v_add_co_u32_e64 v2, s[0:1], s16, v216
	s_movk_i32 s0, 0x132
	v_add_co_u32_e64 v1, s[0:1], s0, v216
	s_movk_i32 s0, 0x198
	;; [unrolled: 2-line block ×5, first 2 shown]
	v_mul_lo_u16_sdwa v6, v216, s0 dst_sel:DWORD dst_unused:UNUSED_PAD src0_sel:BYTE_0 src1_sel:DWORD
	v_lshrrev_b16_e32 v67, 12, v6
	v_mul_lo_u16_e32 v3, 17, v67
	v_sub_u16_e32 v3, v216, v3
	v_and_b32_e32 v98, 0xff, v3
	v_add_u16_e32 v3, 0x66, v216
	v_mul_lo_u16_sdwa v7, v3, s0 dst_sel:DWORD dst_unused:UNUSED_PAD src0_sel:BYTE_0 src1_sel:DWORD
	v_lshrrev_b16_e32 v99, 12, v7
	v_mul_lo_u16_e32 v9, 17, v99
	v_sub_u16_e32 v9, v3, v9
	v_lshlrev_b32_e32 v8, 4, v98
	v_and_b32_e32 v100, 0xff, v9
	s_waitcnt vmcnt(0) lgkmcnt(0)
	s_barrier
	v_lshlrev_b32_e32 v9, 4, v100
	global_load_dwordx4 v[121:124], v8, s[8:9]
	global_load_dwordx4 v[117:120], v9, s[8:9]
	s_mov_b32 s0, 0xf0f1
	v_mul_u32_u24_sdwa v16, v2, s0 dst_sel:DWORD dst_unused:UNUSED_PAD src0_sel:WORD_0 src1_sel:DWORD
	v_lshrrev_b32_e32 v101, 20, v16
	v_mul_u32_u24_sdwa v15, v1, s0 dst_sel:DWORD dst_unused:UNUSED_PAD src0_sel:WORD_0 src1_sel:DWORD
	v_mul_lo_u16_e32 v8, 17, v101
	v_lshrrev_b32_e32 v103, 20, v15
	v_sub_u16_e32 v102, v2, v8
	v_mul_lo_u16_e32 v9, 17, v103
	v_mul_u32_u24_sdwa v14, v0, s0 dst_sel:DWORD dst_unused:UNUSED_PAD src0_sel:WORD_0 src1_sel:DWORD
	v_add_u16_e32 v12, 0x1fe, v216
	v_lshlrev_b32_e32 v8, 4, v102
	v_sub_u16_e32 v104, v1, v9
	v_lshrrev_b32_e32 v105, 20, v14
	v_mul_u32_u24_e32 v13, 0xf0f1, v12
	v_lshlrev_b32_e32 v9, 4, v104
	global_load_dwordx4 v[129:132], v8, s[8:9]
	global_load_dwordx4 v[125:128], v9, s[8:9]
	v_mul_lo_u16_e32 v8, 17, v105
	v_lshrrev_b32_e32 v107, 20, v13
	v_sub_u16_e32 v106, v0, v8
	v_mul_lo_u16_e32 v9, 17, v107
	v_lshlrev_b32_e32 v8, 4, v106
	v_sub_u16_e32 v108, v12, v9
	v_lshlrev_b32_e32 v9, 4, v108
	global_load_dwordx4 v[137:140], v8, s[8:9]
	global_load_dwordx4 v[133:136], v9, s[8:9]
	v_mul_u32_u24_sdwa v8, v4, s0 dst_sel:DWORD dst_unused:UNUSED_PAD src0_sel:WORD_0 src1_sel:DWORD
	v_lshrrev_b32_e32 v109, 20, v8
	v_mul_lo_u16_e32 v9, 17, v109
	v_sub_u16_e32 v110, v4, v9
	v_mul_u32_u24_sdwa v9, v5, s0 dst_sel:DWORD dst_unused:UNUSED_PAD src0_sel:WORD_0 src1_sel:DWORD
	v_lshrrev_b32_e32 v111, 20, v9
	v_mul_lo_u16_e32 v11, 17, v111
	v_lshlrev_b32_e32 v10, 4, v110
	v_sub_u16_e32 v116, v5, v11
	global_load_dwordx4 v[145:148], v10, s[8:9]
	v_lshlrev_b32_e32 v10, 4, v116
	global_load_dwordx4 v[141:144], v10, s[8:9]
	v_mov_b32_e32 v10, 4
	v_lshlrev_b32_sdwa v69, v10, v216 dst_sel:DWORD dst_unused:UNUSED_PAD src0_sel:DWORD src1_sel:WORD_0
	ds_read_b128 v[17:20], v69
	ds_read_b128 v[21:24], v69 offset:1632
	ds_read_b128 v[25:28], v69 offset:13056
	;; [unrolled: 1-line block ×15, first 2 shown]
	s_movk_i32 s10, 0x44
	v_cmp_gt_u16_e64 s[0:1], 34, v216
	s_waitcnt vmcnt(7) lgkmcnt(13)
	v_mul_f64 v[10:11], v[27:28], v[123:124]
	v_mul_f64 v[65:66], v[25:26], v[123:124]
	s_waitcnt vmcnt(6) lgkmcnt(12)
	v_mul_f64 v[86:87], v[31:32], v[119:120]
	v_mul_f64 v[88:89], v[29:30], v[119:120]
	v_fma_f64 v[10:11], v[25:26], v[121:122], -v[10:11]
	buffer_store_dword v121, off, s[60:63], 0 offset:44 ; 4-byte Folded Spill
	s_nop 0
	buffer_store_dword v122, off, s[60:63], 0 offset:48 ; 4-byte Folded Spill
	buffer_store_dword v123, off, s[60:63], 0 offset:52 ; 4-byte Folded Spill
	;; [unrolled: 1-line block ×3, first 2 shown]
	v_fma_f64 v[29:30], v[29:30], v[117:118], -v[86:87]
	buffer_store_dword v117, off, s[60:63], 0 offset:28 ; 4-byte Folded Spill
	s_nop 0
	buffer_store_dword v118, off, s[60:63], 0 offset:32 ; 4-byte Folded Spill
	buffer_store_dword v119, off, s[60:63], 0 offset:36 ; 4-byte Folded Spill
	;; [unrolled: 1-line block ×3, first 2 shown]
	s_waitcnt vmcnt(13) lgkmcnt(9)
	v_mul_f64 v[90:91], v[43:44], v[131:132]
	s_waitcnt vmcnt(12) lgkmcnt(8)
	v_mul_f64 v[94:95], v[47:48], v[127:128]
	v_mul_f64 v[92:93], v[41:42], v[131:132]
	v_mul_f64 v[96:97], v[45:46], v[127:128]
	v_add_f64 v[29:30], v[21:22], -v[29:30]
	s_waitcnt vmcnt(11) lgkmcnt(5)
	v_mul_f64 v[25:26], v[59:60], v[139:140]
	v_fma_f64 v[41:42], v[41:42], v[129:130], -v[90:91]
	buffer_store_dword v129, off, s[60:63], 0 offset:76 ; 4-byte Folded Spill
	s_nop 0
	buffer_store_dword v130, off, s[60:63], 0 offset:80 ; 4-byte Folded Spill
	buffer_store_dword v131, off, s[60:63], 0 offset:84 ; 4-byte Folded Spill
	;; [unrolled: 1-line block ×3, first 2 shown]
	v_fma_f64 v[45:46], v[45:46], v[125:126], -v[94:95]
	buffer_store_dword v125, off, s[60:63], 0 offset:60 ; 4-byte Folded Spill
	s_nop 0
	buffer_store_dword v126, off, s[60:63], 0 offset:64 ; 4-byte Folded Spill
	buffer_store_dword v127, off, s[60:63], 0 offset:68 ; 4-byte Folded Spill
	buffer_store_dword v128, off, s[60:63], 0 offset:72 ; 4-byte Folded Spill
	s_waitcnt vmcnt(18) lgkmcnt(4)
	v_mul_f64 v[86:87], v[63:64], v[135:136]
	v_fma_f64 v[21:22], v[21:22], 2.0, -v[29:30]
	v_add_f64 v[41:42], v[33:34], -v[41:42]
	s_waitcnt vmcnt(17) lgkmcnt(1)
	v_mul_f64 v[90:91], v[80:81], v[147:148]
	v_add_f64 v[45:46], v[37:38], -v[45:46]
	s_waitcnt vmcnt(16) lgkmcnt(0)
	v_mul_f64 v[94:95], v[84:85], v[143:144]
	v_fma_f64 v[33:34], v[33:34], 2.0, -v[41:42]
	v_fma_f64 v[37:38], v[37:38], 2.0, -v[45:46]
	v_fma_f64 v[27:28], v[27:28], v[121:122], v[65:66]
	v_mul_f64 v[65:66], v[57:58], v[139:140]
	v_fma_f64 v[57:58], v[57:58], v[137:138], -v[25:26]
	buffer_store_dword v137, off, s[60:63], 0 offset:108 ; 4-byte Folded Spill
	s_nop 0
	buffer_store_dword v138, off, s[60:63], 0 offset:112 ; 4-byte Folded Spill
	buffer_store_dword v139, off, s[60:63], 0 offset:116 ; 4-byte Folded Spill
	;; [unrolled: 1-line block ×3, first 2 shown]
	v_fma_f64 v[31:32], v[31:32], v[117:118], v[88:89]
	v_mul_f64 v[88:89], v[61:62], v[135:136]
	v_fma_f64 v[61:62], v[61:62], v[133:134], -v[86:87]
	buffer_store_dword v133, off, s[60:63], 0 offset:92 ; 4-byte Folded Spill
	s_nop 0
	buffer_store_dword v134, off, s[60:63], 0 offset:96 ; 4-byte Folded Spill
	buffer_store_dword v135, off, s[60:63], 0 offset:100 ; 4-byte Folded Spill
	;; [unrolled: 1-line block ×3, first 2 shown]
	v_add_f64 v[25:26], v[17:18], -v[10:11]
	v_add_f64 v[27:28], v[19:20], -v[27:28]
	;; [unrolled: 1-line block ×3, first 2 shown]
	v_mul_lo_u16_e32 v10, 34, v67
	v_add_f64 v[31:32], v[23:24], -v[31:32]
	v_and_b32_e32 v10, 0xfe, v10
	v_add_f64 v[61:62], v[53:54], -v[61:62]
	v_add_lshl_u32 v10, v10, v98, 4
	v_fma_f64 v[17:18], v[17:18], 2.0, -v[25:26]
	v_fma_f64 v[43:44], v[43:44], v[129:130], v[92:93]
	v_mul_f64 v[92:93], v[78:79], v[147:148]
	v_fma_f64 v[47:48], v[47:48], v[125:126], v[96:97]
	v_mul_f64 v[96:97], v[82:83], v[143:144]
	v_fma_f64 v[82:83], v[82:83], v[141:142], -v[94:95]
	v_fma_f64 v[19:20], v[19:20], 2.0, -v[27:28]
	v_fma_f64 v[23:24], v[23:24], 2.0, -v[31:32]
	v_fma_f64 v[49:50], v[49:50], 2.0, -v[57:58]
	v_add_f64 v[43:44], v[35:36], -v[43:44]
	v_fma_f64 v[53:54], v[53:54], 2.0, -v[61:62]
	v_add_f64 v[47:48], v[39:40], -v[47:48]
	v_add_f64 v[82:83], v[74:75], -v[82:83]
	v_fma_f64 v[35:36], v[35:36], 2.0, -v[43:44]
	v_fma_f64 v[39:40], v[39:40], 2.0, -v[47:48]
	;; [unrolled: 1-line block ×3, first 2 shown]
	v_fma_f64 v[59:60], v[59:60], v[137:138], v[65:66]
	v_fma_f64 v[65:66], v[78:79], v[145:146], -v[90:91]
	buffer_store_dword v145, off, s[60:63], 0 offset:152 ; 4-byte Folded Spill
	s_nop 0
	buffer_store_dword v146, off, s[60:63], 0 offset:156 ; 4-byte Folded Spill
	buffer_store_dword v147, off, s[60:63], 0 offset:160 ; 4-byte Folded Spill
	;; [unrolled: 1-line block ×4, first 2 shown]
	s_nop 0
	buffer_store_dword v142, off, s[60:63], 0 offset:128 ; 4-byte Folded Spill
	buffer_store_dword v143, off, s[60:63], 0 offset:132 ; 4-byte Folded Spill
	;; [unrolled: 1-line block ×3, first 2 shown]
	v_fma_f64 v[63:64], v[63:64], v[133:134], v[88:89]
	s_waitcnt vmcnt(0)
	s_barrier
	v_add_f64 v[59:60], v[51:52], -v[59:60]
	v_add_f64 v[78:79], v[70:71], -v[65:66]
	ds_write_b128 v10, v[17:20]
	buffer_store_dword v10, off, s[60:63], 0 offset:140 ; 4-byte Folded Spill
	v_add_f64 v[63:64], v[55:56], -v[63:64]
	ds_write_b128 v10, v[25:28] offset:272
	v_mul_u32_u24_e32 v10, 34, v99
	v_add_lshl_u32 v10, v10, v100, 4
	v_fma_f64 v[51:52], v[51:52], 2.0, -v[59:60]
	ds_write_b128 v10, v[21:24]
	buffer_store_dword v10, off, s[60:63], 0 offset:144 ; 4-byte Folded Spill
	ds_write_b128 v10, v[29:32] offset:272
	v_fma_f64 v[55:56], v[55:56], 2.0, -v[63:64]
	v_mad_legacy_u16 v10, v101, 34, v102
	v_lshlrev_b32_e32 v10, 4, v10
	ds_write_b128 v10, v[33:36]
	buffer_store_dword v10, off, s[60:63], 0 offset:148 ; 4-byte Folded Spill
	ds_write_b128 v10, v[41:44] offset:272
	v_mad_legacy_u16 v10, v103, 34, v104
	v_fma_f64 v[70:71], v[70:71], 2.0, -v[78:79]
	v_lshlrev_b32_e32 v10, 4, v10
	ds_write_b128 v10, v[37:40]
	buffer_store_dword v10, off, s[60:63], 0 offset:168 ; 4-byte Folded Spill
	ds_write_b128 v10, v[45:48] offset:272
	v_mad_legacy_u16 v10, v105, 34, v106
	v_lshlrev_b32_e32 v10, 4, v10
	ds_write_b128 v10, v[49:52]
	buffer_store_dword v10, off, s[60:63], 0 offset:172 ; 4-byte Folded Spill
	ds_write_b128 v10, v[57:60] offset:272
	v_mad_legacy_u16 v10, v107, 34, v108
	v_lshlrev_b32_e32 v10, 4, v10
	ds_write_b128 v10, v[53:56]
	v_lshrrev_b16_e32 v55, 13, v6
	buffer_store_dword v10, off, s[60:63], 0 offset:176 ; 4-byte Folded Spill
	ds_write_b128 v10, v[61:64] offset:272
	v_mad_legacy_u16 v10, v109, 34, v110
	v_mul_lo_u16_e32 v6, 34, v55
	v_lshrrev_b16_e32 v57, 13, v7
	v_lshlrev_b32_e32 v10, 4, v10
	v_sub_u16_e32 v6, v216, v6
	v_mul_lo_u16_e32 v7, 34, v57
	buffer_store_dword v10, off, s[60:63], 0 offset:180 ; 4-byte Folded Spill
	v_and_b32_e32 v56, 0xff, v6
	v_sub_u16_e32 v7, v3, v7
	v_lshlrev_b32_e32 v6, 4, v56
	v_and_b32_e32 v58, 0xff, v7
	v_lshrrev_b32_e32 v59, 21, v16
	v_lshlrev_b32_e32 v7, 4, v58
	v_lshrrev_b32_e32 v99, 21, v14
	v_lshrrev_b32_e32 v101, 21, v13
	v_lshrrev_b32_e32 v103, 21, v8
	v_lshrrev_b32_e32 v105, 21, v9
	v_fma_f64 v[80:81], v[80:81], v[145:146], v[92:93]
	v_fma_f64 v[84:85], v[84:85], v[141:142], v[96:97]
	v_lshrrev_b32_e32 v97, 21, v15
	v_add_f64 v[80:81], v[72:73], -v[80:81]
	v_add_f64 v[84:85], v[76:77], -v[84:85]
	v_fma_f64 v[72:73], v[72:73], 2.0, -v[80:81]
	v_fma_f64 v[76:77], v[76:77], 2.0, -v[84:85]
	ds_write_b128 v10, v[78:81] offset:272
	ds_write_b128 v10, v[70:73]
	v_mad_legacy_u16 v10, v111, 34, v116
	v_lshlrev_b32_e32 v10, 4, v10
	ds_write_b128 v10, v[74:77]
	buffer_store_dword v10, off, s[60:63], 0 offset:184 ; 4-byte Folded Spill
	ds_write_b128 v10, v[82:85] offset:272
	s_waitcnt vmcnt(0) lgkmcnt(0)
	s_barrier
	global_load_dwordx4 v[120:123], v6, s[8:9] offset:272
	global_load_dwordx4 v[107:110], v7, s[8:9] offset:272
	v_mul_lo_u16_e32 v6, 34, v59
	v_sub_u16_e32 v96, v2, v6
	v_mul_lo_u16_e32 v7, 34, v97
	v_lshlrev_b32_e32 v6, 4, v96
	v_sub_u16_e32 v98, v1, v7
	v_lshlrev_b32_e32 v7, 4, v98
	global_load_dwordx4 v[124:127], v6, s[8:9] offset:272
	global_load_dwordx4 v[116:119], v7, s[8:9] offset:272
	v_mul_lo_u16_e32 v6, 34, v99
	v_sub_u16_e32 v100, v0, v6
	v_mul_lo_u16_e32 v7, 34, v101
	v_lshlrev_b32_e32 v6, 4, v100
	v_sub_u16_e32 v102, v12, v7
	v_lshlrev_b32_e32 v7, 4, v102
	global_load_dwordx4 v[132:135], v6, s[8:9] offset:272
	global_load_dwordx4 v[128:131], v7, s[8:9] offset:272
	v_mul_lo_u16_e32 v6, 34, v103
	v_sub_u16_e32 v104, v4, v6
	v_mul_lo_u16_e32 v6, 34, v105
	v_lshlrev_b32_e32 v4, 4, v104
	v_sub_u16_e32 v106, v5, v6
	global_load_dwordx4 v[140:143], v4, s[8:9] offset:272
	v_lshlrev_b32_e32 v4, 4, v106
	global_load_dwordx4 v[136:139], v4, s[8:9] offset:272
	ds_read_b128 v[4:7], v69
	ds_read_b128 v[8:11], v69 offset:1632
	ds_read_b128 v[17:20], v69 offset:13056
	;; [unrolled: 1-line block ×15, first 2 shown]
	s_waitcnt vmcnt(7) lgkmcnt(13)
	v_mul_f64 v[53:54], v[19:20], v[122:123]
	s_waitcnt vmcnt(6) lgkmcnt(12)
	v_mul_f64 v[62:63], v[23:24], v[109:110]
	v_mul_f64 v[60:61], v[17:18], v[122:123]
	;; [unrolled: 1-line block ×3, first 2 shown]
	s_waitcnt vmcnt(5) lgkmcnt(9)
	v_mul_f64 v[66:67], v[35:36], v[126:127]
	s_waitcnt vmcnt(4) lgkmcnt(8)
	v_mul_f64 v[92:93], v[39:40], v[118:119]
	v_fma_f64 v[17:18], v[17:18], v[120:121], -v[53:54]
	buffer_store_dword v120, off, s[60:63], 0 offset:220 ; 4-byte Folded Spill
	s_nop 0
	buffer_store_dword v121, off, s[60:63], 0 offset:224 ; 4-byte Folded Spill
	buffer_store_dword v122, off, s[60:63], 0 offset:228 ; 4-byte Folded Spill
	;; [unrolled: 1-line block ×3, first 2 shown]
	v_mul_f64 v[90:91], v[33:34], v[126:127]
	v_mul_f64 v[94:95], v[37:38], v[118:119]
	v_fma_f64 v[21:22], v[21:22], v[107:108], -v[62:63]
	buffer_store_dword v107, off, s[60:63], 0 offset:188 ; 4-byte Folded Spill
	s_nop 0
	buffer_store_dword v108, off, s[60:63], 0 offset:192 ; 4-byte Folded Spill
	buffer_store_dword v109, off, s[60:63], 0 offset:196 ; 4-byte Folded Spill
	buffer_store_dword v110, off, s[60:63], 0 offset:200 ; 4-byte Folded Spill
	v_fma_f64 v[33:34], v[33:34], v[124:125], -v[66:67]
	buffer_store_dword v124, off, s[60:63], 0 offset:236 ; 4-byte Folded Spill
	s_nop 0
	buffer_store_dword v125, off, s[60:63], 0 offset:240 ; 4-byte Folded Spill
	buffer_store_dword v126, off, s[60:63], 0 offset:244 ; 4-byte Folded Spill
	buffer_store_dword v127, off, s[60:63], 0 offset:248 ; 4-byte Folded Spill
	;; [unrolled: 6-line block ×3, first 2 shown]
	s_waitcnt vmcnt(19) lgkmcnt(5)
	v_mul_f64 v[53:54], v[51:52], v[134:135]
	s_waitcnt vmcnt(18) lgkmcnt(4)
	v_mul_f64 v[62:63], v[72:73], v[130:131]
	;; [unrolled: 2-line block ×3, first 2 shown]
	v_add_f64 v[17:18], v[4:5], -v[17:18]
	s_waitcnt vmcnt(16) lgkmcnt(0)
	v_mul_f64 v[92:93], v[88:89], v[138:139]
	v_add_f64 v[21:22], v[8:9], -v[21:22]
	v_add_f64 v[33:34], v[25:26], -v[33:34]
	;; [unrolled: 1-line block ×3, first 2 shown]
	v_fma_f64 v[4:5], v[4:5], 2.0, -v[17:18]
	v_fma_f64 v[8:9], v[8:9], 2.0, -v[21:22]
	;; [unrolled: 1-line block ×4, first 2 shown]
	v_fma_f64 v[19:20], v[19:20], v[120:121], v[60:61]
	v_mul_f64 v[60:61], v[49:50], v[134:135]
	v_fma_f64 v[49:50], v[49:50], v[132:133], -v[53:54]
	buffer_store_dword v132, off, s[60:63], 0 offset:268 ; 4-byte Folded Spill
	s_nop 0
	buffer_store_dword v133, off, s[60:63], 0 offset:272 ; 4-byte Folded Spill
	buffer_store_dword v134, off, s[60:63], 0 offset:276 ; 4-byte Folded Spill
	;; [unrolled: 1-line block ×3, first 2 shown]
	v_fma_f64 v[23:24], v[23:24], v[107:108], v[64:65]
	v_mul_f64 v[64:65], v[70:71], v[130:131]
	v_fma_f64 v[35:36], v[35:36], v[124:125], v[90:91]
	v_mul_f64 v[90:91], v[82:83], v[142:143]
	;; [unrolled: 2-line block ×3, first 2 shown]
	v_fma_f64 v[53:54], v[70:71], v[128:129], -v[62:63]
	buffer_store_dword v128, off, s[60:63], 0 offset:252 ; 4-byte Folded Spill
	s_nop 0
	buffer_store_dword v129, off, s[60:63], 0 offset:256 ; 4-byte Folded Spill
	buffer_store_dword v130, off, s[60:63], 0 offset:260 ; 4-byte Folded Spill
	buffer_store_dword v131, off, s[60:63], 0 offset:264 ; 4-byte Folded Spill
	v_fma_f64 v[62:63], v[82:83], v[140:141], -v[66:67]
	buffer_store_dword v140, off, s[60:63], 0 offset:312 ; 4-byte Folded Spill
	s_nop 0
	buffer_store_dword v141, off, s[60:63], 0 offset:316 ; 4-byte Folded Spill
	buffer_store_dword v142, off, s[60:63], 0 offset:320 ; 4-byte Folded Spill
	buffer_store_dword v143, off, s[60:63], 0 offset:324 ; 4-byte Folded Spill
	;; [unrolled: 6-line block ×3, first 2 shown]
	v_add_f64 v[19:20], v[6:7], -v[19:20]
	v_add_f64 v[23:24], v[10:11], -v[23:24]
	;; [unrolled: 1-line block ×8, first 2 shown]
	v_fma_f64 v[6:7], v[6:7], 2.0, -v[19:20]
	v_fma_f64 v[10:11], v[10:11], 2.0, -v[23:24]
	;; [unrolled: 1-line block ×3, first 2 shown]
	v_mul_lo_u16_e32 v53, 0x44, v55
	v_fma_f64 v[31:32], v[31:32], 2.0, -v[39:40]
	v_and_b32_e32 v53, 0xfc, v53
	v_add_lshl_u32 v53, v53, v56, 4
	v_fma_f64 v[41:42], v[41:42], 2.0, -v[49:50]
	s_waitcnt vmcnt(0)
	s_barrier
	ds_write_b128 v53, v[4:7]
	v_mul_u32_u24_e32 v4, 0x44, v57
	v_add_lshl_u32 v4, v4, v58, 4
	ds_write_b128 v53, v[17:20] offset:544
	ds_write_b128 v4, v[8:11]
	buffer_store_dword v4, off, s[60:63], 0 offset:304 ; 4-byte Folded Spill
	ds_write_b128 v4, v[21:24] offset:544
	v_mad_legacy_u16 v4, v59, s10, v96
	v_lshlrev_b32_e32 v4, 4, v4
	v_fma_f64 v[45:46], v[45:46], 2.0, -v[70:71]
	v_fma_f64 v[74:75], v[74:75], 2.0, -v[82:83]
	;; [unrolled: 1-line block ×3, first 2 shown]
	ds_write_b128 v4, v[25:28]
	buffer_store_dword v4, off, s[60:63], 0 offset:308 ; 4-byte Folded Spill
	ds_write_b128 v4, v[33:36] offset:544
	v_mad_legacy_u16 v4, v97, s10, v98
	v_lshlrev_b32_e32 v4, 4, v4
	ds_write_b128 v4, v[29:32]
	buffer_store_dword v4, off, s[60:63], 0 offset:328 ; 4-byte Folded Spill
	ds_write_b128 v4, v[37:40] offset:544
	v_mad_legacy_u16 v4, v99, s10, v100
	v_lshlrev_b32_e32 v4, 4, v4
	buffer_store_dword v4, off, s[60:63], 0 offset:332 ; 4-byte Folded Spill
	buffer_store_dword v53, off, s[60:63], 0 offset:300 ; 4-byte Folded Spill
	v_fma_f64 v[51:52], v[51:52], v[132:133], v[60:61]
	v_fma_f64 v[60:61], v[72:73], v[128:129], v[64:65]
	v_add_f64 v[51:52], v[43:44], -v[51:52]
	v_fma_f64 v[64:65], v[84:85], v[140:141], v[90:91]
	v_fma_f64 v[86:87], v[88:89], v[136:137], v[94:95]
                                        ; implicit-def: $vgpr136_vgpr137
	v_add_f64 v[72:73], v[47:48], -v[60:61]
	v_fma_f64 v[43:44], v[43:44], 2.0, -v[51:52]
	v_add_f64 v[84:85], v[76:77], -v[64:65]
	ds_write_b128 v4, v[49:52] offset:544
	v_add_f64 v[118:119], v[80:81], -v[86:87]
	v_fma_f64 v[47:48], v[47:48], 2.0, -v[72:73]
	ds_write_b128 v4, v[41:44]
	v_fma_f64 v[76:77], v[76:77], 2.0, -v[84:85]
	v_mad_legacy_u16 v4, v101, s10, v102
	v_fma_f64 v[80:81], v[80:81], 2.0, -v[118:119]
	v_lshlrev_b32_e32 v102, 4, v4
	v_mad_legacy_u16 v4, v103, s10, v104
	v_lshlrev_b32_e32 v107, 4, v4
	v_mad_legacy_u16 v4, v105, s10, v106
	v_lshlrev_b32_e32 v105, 4, v4
	ds_write_b128 v102, v[45:48]
	ds_write_b128 v102, v[70:73] offset:544
	ds_write_b128 v107, v[74:77]
	ds_write_b128 v107, v[82:85] offset:544
	;; [unrolled: 2-line block ×3, first 2 shown]
	s_waitcnt vmcnt(0) lgkmcnt(0)
	s_barrier
	ds_read_b128 v[128:131], v69
	ds_read_b128 v[8:11], v69 offset:1632
	ds_read_b128 v[144:147], v69 offset:17408
	;; [unrolled: 1-line block ×14, first 2 shown]
	s_and_saveexec_b64 s[2:3], s[0:1]
	s_cbranch_execz .LBB0_9
; %bb.8:
	ds_read_b128 v[116:119], v69 offset:8160
	ds_read_b128 v[112:115], v69 offset:16864
	;; [unrolled: 1-line block ×3, first 2 shown]
.LBB0_9:
	s_or_b64 exec, exec, s[2:3]
	s_movk_i32 s2, 0xffbc
	v_add_co_u32_e64 v17, s[2:3], s2, v216
	v_addc_co_u32_e64 v18, s[2:3], 0, -1, s[2:3]
	v_cmp_gt_u16_e64 s[2:3], s10, v216
	v_cndmask_b32_e64 v61, v18, 0, s[2:3]
	v_cndmask_b32_e64 v60, v17, v216, s[2:3]
	v_lshlrev_b64 v[17:18], 5, v[60:61]
	v_lshrrev_b32_e32 v56, 22, v16
	v_mov_b32_e32 v19, s9
	v_add_co_u32_e64 v17, s[2:3], s8, v17
	v_mul_lo_u16_e32 v16, 0x44, v56
	v_addc_co_u32_e64 v18, s[2:3], v19, v18, s[2:3]
	v_sub_u16_e32 v57, v2, v16
	s_movk_i32 s2, 0x79
	v_lshlrev_b16_e32 v2, 5, v57
	global_load_dwordx4 v[61:64], v[17:18], off offset:832
	global_load_dwordx4 v[76:79], v[17:18], off offset:816
	v_mul_lo_u16_sdwa v18, v3, s2 dst_sel:DWORD dst_unused:UNUSED_PAD src0_sel:BYTE_0 src1_sel:DWORD
	v_add_co_u32_e64 v16, s[2:3], s8, v2
	v_addc_co_u32_e64 v17, s[2:3], 0, v19, s[2:3]
	global_load_dwordx4 v[50:53], v[16:17], off offset:832
	global_load_dwordx4 v[46:49], v[16:17], off offset:816
	v_lshrrev_b32_e32 v58, 22, v15
	v_mul_lo_u16_e32 v2, 0x44, v58
	v_sub_u16_e32 v59, v1, v2
	v_lshlrev_b16_e32 v1, 5, v59
	v_add_co_u32_e64 v1, s[2:3], s8, v1
	v_addc_co_u32_e64 v2, s[2:3], 0, v19, s[2:3]
	v_lshrrev_b32_e32 v67, 22, v14
	global_load_dwordx4 v[80:83], v[1:2], off offset:832
	global_load_dwordx4 v[84:87], v[1:2], off offset:816
	v_mul_lo_u16_e32 v1, 0x44, v67
	v_lshrrev_b16_e32 v73, 13, v18
	v_sub_u16_e32 v72, v0, v1
	v_mul_lo_u16_e32 v2, 0x44, v73
	v_lshlrev_b16_e32 v0, 5, v72
	v_sub_u16_e32 v2, v3, v2
	v_add_co_u32_e64 v0, s[2:3], s8, v0
	v_and_b32_e32 v74, 0xff, v2
	v_addc_co_u32_e64 v1, s[2:3], 0, v19, s[2:3]
	v_lshlrev_b32_e32 v2, 5, v74
	global_load_dwordx4 v[88:91], v[0:1], off offset:816
	global_load_dwordx4 v[108:111], v2, s[8:9] offset:816
	global_load_dwordx4 v[180:183], v2, s[8:9] offset:832
	global_load_dwordx4 v[176:179], v[0:1], off offset:832
	v_lshrrev_b32_e32 v0, 22, v13
	v_mul_lo_u16_e32 v0, 0x44, v0
	v_sub_u16_e32 v75, v12, v0
	v_lshlrev_b16_e32 v0, 5, v75
	v_add_co_u32_e64 v0, s[2:3], s8, v0
	v_addc_co_u32_e64 v1, s[2:3], 0, v19, s[2:3]
	global_load_dwordx4 v[98:101], v[0:1], off offset:816
	global_load_dwordx4 v[94:97], v[0:1], off offset:832
	s_mov_b32 s2, 0xe8584caa
	s_mov_b32 s3, 0x3febb67a
	;; [unrolled: 1-line block ×4, first 2 shown]
	v_lshlrev_b32_e32 v104, 4, v75
	s_waitcnt vmcnt(11) lgkmcnt(12)
	v_mul_f64 v[32:33], v[146:147], v[63:64]
	s_waitcnt vmcnt(10) lgkmcnt(4)
	v_mul_f64 v[28:29], v[170:171], v[78:79]
	v_mul_f64 v[30:31], v[168:169], v[78:79]
	;; [unrolled: 1-line block ×3, first 2 shown]
	s_waitcnt vmcnt(9)
	v_mul_f64 v[12:13], v[174:175], v[52:53]
	s_waitcnt vmcnt(8)
	v_mul_f64 v[0:1], v[166:167], v[48:49]
	v_mul_f64 v[2:3], v[164:165], v[48:49]
	v_mul_f64 v[14:15], v[172:173], v[52:53]
	v_fma_f64 v[28:29], v[168:169], v[76:77], -v[28:29]
	v_fma_f64 v[32:33], v[144:145], v[61:62], -v[32:33]
	;; [unrolled: 1-line block ×3, first 2 shown]
	buffer_store_dword v46, off, s[60:63], 0 offset:384 ; 4-byte Folded Spill
	s_nop 0
	buffer_store_dword v47, off, s[60:63], 0 offset:388 ; 4-byte Folded Spill
	buffer_store_dword v48, off, s[60:63], 0 offset:392 ; 4-byte Folded Spill
	;; [unrolled: 1-line block ×3, first 2 shown]
	v_fma_f64 v[48:49], v[172:173], v[50:51], -v[12:13]
	buffer_store_dword v50, off, s[60:63], 0 offset:368 ; 4-byte Folded Spill
	s_nop 0
	buffer_store_dword v51, off, s[60:63], 0 offset:372 ; 4-byte Folded Spill
	buffer_store_dword v52, off, s[60:63], 0 offset:376 ; 4-byte Folded Spill
	buffer_store_dword v53, off, s[60:63], 0 offset:380 ; 4-byte Folded Spill
	buffer_store_dword v76, off, s[60:63], 0 offset:352 ; 4-byte Folded Spill
	s_nop 0
	buffer_store_dword v77, off, s[60:63], 0 offset:356 ; 4-byte Folded Spill
	buffer_store_dword v78, off, s[60:63], 0 offset:360 ; 4-byte Folded Spill
	buffer_store_dword v79, off, s[60:63], 0 offset:364 ; 4-byte Folded Spill
	;; [unrolled: 5-line block ×3, first 2 shown]
	s_waitcnt vmcnt(22) lgkmcnt(2)
	v_mul_f64 v[16:17], v[162:163], v[86:87]
	v_mul_f64 v[18:19], v[160:161], v[86:87]
	;; [unrolled: 1-line block ×4, first 2 shown]
	v_fma_f64 v[52:53], v[160:161], v[84:85], -v[16:17]
	s_waitcnt vmcnt(19)
	v_mul_f64 v[40:41], v[142:143], v[182:183]
	s_waitcnt lgkmcnt(1)
	v_mul_f64 v[24:25], v[158:159], v[90:91]
	v_mul_f64 v[42:43], v[140:141], v[182:183]
	s_waitcnt vmcnt(18) lgkmcnt(0)
	v_mul_f64 v[0:1], v[134:135], v[178:179]
	v_mul_f64 v[26:27], v[156:157], v[90:91]
	;; [unrolled: 1-line block ×4, first 2 shown]
	v_fma_f64 v[40:41], v[140:141], v[180:181], -v[40:41]
	buffer_store_dword v180, off, s[60:63], 0 offset:464 ; 4-byte Folded Spill
	s_nop 0
	buffer_store_dword v181, off, s[60:63], 0 offset:468 ; 4-byte Folded Spill
	buffer_store_dword v182, off, s[60:63], 0 offset:472 ; 4-byte Folded Spill
	;; [unrolled: 1-line block ×4, first 2 shown]
	s_nop 0
	buffer_store_dword v85, off, s[60:63], 0 offset:420 ; 4-byte Folded Spill
	buffer_store_dword v86, off, s[60:63], 0 offset:424 ; 4-byte Folded Spill
	;; [unrolled: 1-line block ×3, first 2 shown]
	v_fma_f64 v[65:66], v[156:157], v[88:89], -v[24:25]
	s_waitcnt vmcnt(25)
	v_mul_f64 v[12:13], v[114:115], v[100:101]
	v_mul_f64 v[16:17], v[112:113], v[100:101]
	v_fma_f64 v[36:37], v[148:149], v[108:109], -v[36:37]
	v_fma_f64 v[38:39], v[150:151], v[108:109], v[38:39]
	v_fma_f64 v[46:47], v[166:167], v[46:47], v[2:3]
	v_mul_f64 v[2:3], v[132:133], v[178:179]
	v_fma_f64 v[132:133], v[132:133], v[176:177], -v[0:1]
	v_fma_f64 v[30:31], v[170:171], v[76:77], v[30:31]
	v_fma_f64 v[34:35], v[146:147], v[61:62], v[34:35]
	v_fma_f64 v[61:62], v[152:153], v[80:81], -v[20:21]
	buffer_store_dword v80, off, s[60:63], 0 offset:400 ; 4-byte Folded Spill
	s_nop 0
	buffer_store_dword v81, off, s[60:63], 0 offset:404 ; 4-byte Folded Spill
	buffer_store_dword v82, off, s[60:63], 0 offset:408 ; 4-byte Folded Spill
	buffer_store_dword v83, off, s[60:63], 0 offset:412 ; 4-byte Folded Spill
	buffer_store_dword v88, off, s[60:63], 0 offset:432 ; 4-byte Folded Spill
	s_nop 0
	buffer_store_dword v89, off, s[60:63], 0 offset:436 ; 4-byte Folded Spill
	buffer_store_dword v90, off, s[60:63], 0 offset:440 ; 4-byte Folded Spill
	buffer_store_dword v91, off, s[60:63], 0 offset:444 ; 4-byte Folded Spill
	;; [unrolled: 5-line block ×3, first 2 shown]
	v_fma_f64 v[50:51], v[174:175], v[50:51], v[14:15]
	v_add_f64 v[14:15], v[28:29], v[32:33]
	s_waitcnt vmcnt(36)
	v_mul_f64 v[20:21], v[136:137], v[96:97]
	v_fma_f64 v[0:1], v[112:113], v[98:99], -v[12:13]
	v_fma_f64 v[24:25], v[14:15], -0.5, v[128:129]
	v_fma_f64 v[14:15], v[114:115], v[98:99], v[16:17]
	v_fma_f64 v[12:13], v[138:139], v[94:95], v[20:21]
	;; [unrolled: 1-line block ×4, first 2 shown]
	v_mul_f64 v[18:19], v[138:139], v[96:97]
	v_add_f64 v[114:115], v[38:39], -v[42:43]
	v_fma_f64 v[63:64], v[154:155], v[80:81], v[22:23]
	v_add_f64 v[22:23], v[128:129], v[28:29]
	v_fma_f64 v[134:135], v[134:135], v[176:177], v[2:3]
	v_fma_f64 v[2:3], v[136:137], v[94:95], -v[18:19]
	v_add_f64 v[18:19], v[30:31], v[34:35]
	v_fma_f64 v[70:71], v[158:159], v[88:89], v[26:27]
	v_add_f64 v[26:27], v[30:31], -v[34:35]
	v_add_f64 v[28:29], v[28:29], -v[32:33]
	;; [unrolled: 1-line block ×3, first 2 shown]
	v_add_f64 v[16:17], v[22:23], v[32:33]
	v_add_f64 v[22:23], v[130:131], v[30:31]
	;; [unrolled: 1-line block ×3, first 2 shown]
	v_fma_f64 v[112:113], v[18:19], -0.5, v[130:131]
	v_add_f64 v[32:33], v[8:9], v[36:37]
	v_fma_f64 v[20:21], v[26:27], s[2:3], v[24:25]
	v_fma_f64 v[24:25], v[26:27], s[10:11], v[24:25]
	v_add_f64 v[36:37], v[36:37], -v[40:41]
	v_add_f64 v[130:131], v[14:15], -v[12:13]
	v_add_f64 v[18:19], v[22:23], v[34:35]
	v_add_f64 v[34:35], v[38:39], v[42:43]
	v_fma_f64 v[22:23], v[28:29], s[10:11], v[112:113]
	v_fma_f64 v[26:27], v[28:29], s[2:3], v[112:113]
	v_add_f64 v[38:39], v[10:11], v[38:39]
	v_add_f64 v[112:113], v[44:45], v[48:49]
	v_fma_f64 v[30:31], v[30:31], -0.5, v[8:9]
	v_add_f64 v[8:9], v[32:33], v[40:41]
	v_add_f64 v[40:41], v[124:125], v[44:45]
	v_fma_f64 v[34:35], v[34:35], -0.5, v[10:11]
	;; [unrolled: 3-line block ×3, first 2 shown]
	v_add_f64 v[112:113], v[46:47], -v[50:51]
	v_fma_f64 v[28:29], v[114:115], s[2:3], v[30:31]
	v_fma_f64 v[32:33], v[114:115], s[10:11], v[30:31]
	;; [unrolled: 1-line block ×4, first 2 shown]
	v_add_f64 v[36:37], v[40:41], v[48:49]
	v_add_f64 v[114:115], v[52:53], v[61:62]
	;; [unrolled: 1-line block ×3, first 2 shown]
	v_fma_f64 v[124:125], v[38:39], -0.5, v[126:127]
	v_add_f64 v[48:49], v[44:45], -v[48:49]
	v_fma_f64 v[40:41], v[112:113], s[2:3], v[42:43]
	v_add_f64 v[126:127], v[54:55], v[63:64]
	v_fma_f64 v[44:45], v[112:113], s[10:11], v[42:43]
	v_add_f64 v[112:113], v[4:5], v[52:53]
	v_fma_f64 v[114:115], v[114:115], -0.5, v[4:5]
	v_add_f64 v[38:39], v[46:47], v[50:51]
	v_add_f64 v[50:51], v[6:7], v[54:55]
	v_fma_f64 v[42:43], v[48:49], s[10:11], v[124:125]
	v_fma_f64 v[46:47], v[48:49], s[2:3], v[124:125]
	v_fma_f64 v[54:55], v[126:127], -0.5, v[6:7]
	v_add_f64 v[126:127], v[52:53], -v[61:62]
	v_add_f64 v[4:5], v[112:113], v[61:62]
	v_add_f64 v[61:62], v[120:121], v[65:66]
	v_fma_f64 v[48:49], v[128:129], s[2:3], v[114:115]
	v_fma_f64 v[52:53], v[128:129], s[10:11], v[114:115]
	v_add_f64 v[114:115], v[65:66], v[132:133]
	v_add_f64 v[6:7], v[50:51], v[63:64]
	;; [unrolled: 1-line block ×4, first 2 shown]
	v_fma_f64 v[50:51], v[126:127], s[10:11], v[54:55]
	v_add_f64 v[112:113], v[61:62], v[132:133]
	v_add_f64 v[61:62], v[14:15], v[12:13]
	v_fma_f64 v[54:55], v[126:127], s[2:3], v[54:55]
	v_fma_f64 v[114:115], v[114:115], -0.5, v[120:121]
	v_add_f64 v[126:127], v[70:71], -v[134:135]
	v_fma_f64 v[63:64], v[63:64], -0.5, v[122:123]
	v_add_f64 v[65:66], v[65:66], -v[132:133]
	;; [unrolled: 2-line block ×3, first 2 shown]
	v_fma_f64 v[61:62], v[61:62], -0.5, v[118:119]
	v_add_f64 v[70:71], v[122:123], v[70:71]
	v_fma_f64 v[120:121], v[126:127], s[2:3], v[114:115]
	v_fma_f64 v[124:125], v[126:127], s[10:11], v[114:115]
	;; [unrolled: 1-line block ×7, first 2 shown]
	s_movk_i32 s2, 0x43
	v_fma_f64 v[174:175], v[132:133], s[10:11], v[61:62]
	v_mov_b32_e32 v61, 0xcc
	v_cmp_lt_u16_e64 s[2:3], s2, v216
	v_cndmask_b32_e64 v61, 0, v61, s[2:3]
	v_add_lshl_u32 v103, v60, v61, 4
	v_add_f64 v[114:115], v[70:71], v[134:135]
	buffer_store_dword v63, off, s[60:63], 0 offset:12 ; 4-byte Folded Spill
	s_nop 0
	buffer_store_dword v64, off, s[60:63], 0 offset:16 ; 4-byte Folded Spill
	buffer_store_dword v65, off, s[60:63], 0 offset:20 ; 4-byte Folded Spill
	;; [unrolled: 1-line block ×3, first 2 shown]
	s_waitcnt vmcnt(0)
	s_barrier
	ds_write_b128 v103, v[16:19]
	ds_write_b128 v103, v[20:23] offset:1088
	ds_write_b128 v103, v[24:27] offset:2176
	v_mul_u32_u24_e32 v16, 0xcc, v73
	v_add_lshl_u32 v106, v16, v74, 4
	ds_write_b128 v106, v[8:11]
	ds_write_b128 v106, v[28:31] offset:1088
	ds_write_b128 v106, v[32:35] offset:2176
	v_mad_legacy_u16 v8, v56, s16, v57
	v_lshlrev_b32_e32 v8, 4, v8
	ds_write_b128 v8, v[36:39]
	ds_write_b128 v8, v[40:43] offset:1088
	buffer_store_dword v8, off, s[60:63], 0 offset:480 ; 4-byte Folded Spill
	ds_write_b128 v8, v[44:47] offset:2176
	v_mad_legacy_u16 v8, v58, s16, v59
	v_lshlrev_b32_e32 v8, 4, v8
	ds_write_b128 v8, v[4:7]
	ds_write_b128 v8, v[48:51] offset:1088
	v_mad_legacy_u16 v4, v67, s16, v72
	v_lshlrev_b32_e32 v128, 4, v4
	buffer_store_dword v8, off, s[60:63], 0 offset:484 ; 4-byte Folded Spill
	ds_write_b128 v8, v[52:55] offset:2176
	ds_write_b128 v128, v[112:115]
	ds_write_b128 v128, v[120:123] offset:1088
	ds_write_b128 v128, v[124:127] offset:2176
	s_and_saveexec_b64 s[2:3], s[0:1]
	s_cbranch_execz .LBB0_11
; %bb.10:
	v_add_f64 v[4:5], v[118:119], v[14:15]
	v_add_f64 v[0:1], v[116:117], v[0:1]
	v_add_f64 v[4:5], v[4:5], v[12:13]
	v_add_f64 v[2:3], v[0:1], v[2:3]
	ds_write_b128 v104, v[172:175] offset:23936
	ds_write_b128 v104, v[2:5] offset:22848
	buffer_load_dword v0, off, s[60:63], 0 offset:12 ; 4-byte Folded Reload
	buffer_load_dword v1, off, s[60:63], 0 offset:16 ; 4-byte Folded Reload
	;; [unrolled: 1-line block ×4, first 2 shown]
	s_waitcnt vmcnt(0)
	ds_write_b128 v104, v[0:3] offset:25024
.LBB0_11:
	s_or_b64 exec, exec, s[2:3]
	v_mov_b32_e32 v61, s9
	s_movk_i32 s2, 0x70
	v_mov_b32_e32 v60, s8
	v_mad_u64_u32 v[60:61], s[2:3], v216, s2, v[60:61]
	s_waitcnt vmcnt(0) lgkmcnt(0)
	s_barrier
	ds_read_b128 v[16:19], v69
	ds_read_b128 v[0:3], v69 offset:3264
	ds_read_b128 v[4:7], v69 offset:6528
	;; [unrolled: 1-line block ×15, first 2 shown]
	global_load_dwordx4 v[116:119], v[60:61], off offset:3040
	global_load_dwordx4 v[120:123], v[60:61], off offset:3024
	;; [unrolled: 1-line block ×4, first 2 shown]
	s_movk_i32 s2, 0x2ca0
	s_mov_b32 s9, 0x3fe6a09e
	s_waitcnt vmcnt(0) lgkmcnt(14)
	v_mul_f64 v[62:63], v[2:3], v[142:143]
	v_fma_f64 v[62:63], v[0:1], v[140:141], -v[62:63]
	v_mul_f64 v[0:1], v[0:1], v[142:143]
	v_fma_f64 v[64:65], v[2:3], v[140:141], v[0:1]
	s_waitcnt lgkmcnt(13)
	v_mul_f64 v[0:1], v[6:7], v[126:127]
	v_fma_f64 v[66:67], v[4:5], v[124:125], -v[0:1]
	v_mul_f64 v[0:1], v[4:5], v[126:127]
	global_load_dwordx4 v[2:5], v[60:61], off offset:3088
	global_load_dwordx4 v[132:135], v[60:61], off offset:3072
	;; [unrolled: 1-line block ×3, first 2 shown]
	v_fma_f64 v[176:177], v[6:7], v[124:125], v[0:1]
	s_waitcnt lgkmcnt(12)
	v_mul_f64 v[0:1], v[10:11], v[122:123]
	v_fma_f64 v[178:179], v[8:9], v[120:121], -v[0:1]
	v_mul_f64 v[0:1], v[8:9], v[122:123]
	v_fma_f64 v[180:181], v[10:11], v[120:121], v[0:1]
	s_waitcnt lgkmcnt(11)
	v_mul_f64 v[0:1], v[14:15], v[118:119]
	v_fma_f64 v[182:183], v[12:13], v[116:117], -v[0:1]
	v_mul_f64 v[0:1], v[12:13], v[118:119]
	v_fma_f64 v[184:185], v[14:15], v[116:117], v[0:1]
	s_waitcnt vmcnt(0) lgkmcnt(10)
	v_mul_f64 v[0:1], v[22:23], v[138:139]
	v_fma_f64 v[186:187], v[20:21], v[136:137], -v[0:1]
	v_mul_f64 v[0:1], v[20:21], v[138:139]
	v_fma_f64 v[20:21], v[22:23], v[136:137], v[0:1]
	s_waitcnt lgkmcnt(9)
	v_mul_f64 v[0:1], v[26:27], v[134:135]
	v_add_f64 v[20:21], v[64:65], -v[20:21]
	v_fma_f64 v[22:23], v[24:25], v[132:133], -v[0:1]
	v_mul_f64 v[0:1], v[24:25], v[134:135]
	v_add_f64 v[22:23], v[66:67], -v[22:23]
	v_fma_f64 v[24:25], v[26:27], v[132:133], v[0:1]
	s_waitcnt lgkmcnt(8)
	v_mul_f64 v[0:1], v[30:31], v[4:5]
	v_add_f64 v[24:25], v[176:177], -v[24:25]
	v_fma_f64 v[26:27], v[28:29], v[2:3], -v[0:1]
	v_mul_f64 v[0:1], v[28:29], v[4:5]
	buffer_store_dword v2, off, s[60:63], 0 offset:488 ; 4-byte Folded Spill
	s_nop 0
	buffer_store_dword v3, off, s[60:63], 0 offset:492 ; 4-byte Folded Spill
	buffer_store_dword v4, off, s[60:63], 0 offset:496 ; 4-byte Folded Spill
	;; [unrolled: 1-line block ×3, first 2 shown]
	v_add_f64 v[26:27], v[178:179], -v[26:27]
	v_fma_f64 v[28:29], v[30:31], v[2:3], v[0:1]
	v_add_co_u32_e64 v30, s[2:3], s2, v60
	v_addc_co_u32_e64 v31, s[2:3], 0, v61, s[2:3]
	global_load_dwordx4 v[148:151], v[30:31], off offset:3040
	global_load_dwordx4 v[152:155], v[30:31], off offset:3024
	;; [unrolled: 1-line block ×7, first 2 shown]
	v_fma_f64 v[60:61], v[178:179], 2.0, -v[26:27]
	v_add_f64 v[28:29], v[180:181], -v[28:29]
	v_add_f64 v[26:27], v[20:21], v[26:27]
	s_mov_b32 s2, 0x667f3bcd
	s_mov_b32 s3, 0xbfe6a09e
	;; [unrolled: 1-line block ×3, first 2 shown]
	s_waitcnt vmcnt(6) lgkmcnt(3)
	v_mul_f64 v[12:13], v[46:47], v[150:151]
	s_waitcnt vmcnt(5)
	v_mul_f64 v[2:3], v[40:41], v[154:155]
	v_mul_f64 v[14:15], v[44:45], v[150:151]
	s_waitcnt vmcnt(3)
	v_mul_f64 v[0:1], v[34:35], v[166:167]
	s_waitcnt vmcnt(0) lgkmcnt(2)
	v_mul_f64 v[30:31], v[50:51], v[170:171]
	v_fma_f64 v[12:13], v[44:45], v[148:149], -v[12:13]
	v_fma_f64 v[2:3], v[42:43], v[152:153], v[2:3]
	v_add_f64 v[44:45], v[18:19], -v[184:185]
	v_fma_f64 v[4:5], v[32:33], v[164:165], -v[0:1]
	v_mul_f64 v[0:1], v[32:33], v[166:167]
	v_mul_f64 v[32:33], v[48:49], v[170:171]
	v_fma_f64 v[14:15], v[46:47], v[148:149], v[14:15]
	v_fma_f64 v[30:31], v[48:49], v[168:169], -v[30:31]
	v_fma_f64 v[46:47], v[66:67], 2.0, -v[22:23]
	v_fma_f64 v[48:49], v[176:177], 2.0, -v[24:25]
	;; [unrolled: 1-line block ×3, first 2 shown]
	v_add_f64 v[22:23], v[44:45], v[22:23]
	v_fma_f64 v[6:7], v[34:35], v[164:165], v[0:1]
	v_mul_f64 v[0:1], v[38:39], v[158:159]
	v_fma_f64 v[32:33], v[50:51], v[168:169], v[32:33]
	s_waitcnt lgkmcnt(1)
	v_mul_f64 v[34:35], v[54:55], v[162:163]
	v_add_f64 v[50:51], v[62:63], -v[186:187]
	v_add_f64 v[12:13], v[208:209], -v[12:13]
	;; [unrolled: 1-line block ×3, first 2 shown]
	v_fma_f64 v[44:45], v[44:45], 2.0, -v[22:23]
	v_add_f64 v[14:15], v[210:211], -v[14:15]
	v_fma_f64 v[8:9], v[36:37], v[156:157], -v[0:1]
	v_mul_f64 v[0:1], v[36:37], v[158:159]
	v_mul_f64 v[36:37], v[52:53], v[162:163]
	v_fma_f64 v[34:35], v[52:53], v[160:161], -v[34:35]
	v_fma_f64 v[52:53], v[62:63], 2.0, -v[50:51]
	v_fma_f64 v[62:63], v[180:181], 2.0, -v[28:29]
	;; [unrolled: 1-line block ×3, first 2 shown]
	v_add_f64 v[28:29], v[50:51], -v[28:29]
	v_fma_f64 v[10:11], v[38:39], v[156:157], v[0:1]
	v_mul_f64 v[0:1], v[42:43], v[154:155]
	v_add_f64 v[42:43], v[16:17], -v[182:183]
	v_fma_f64 v[36:37], v[54:55], v[160:161], v[36:37]
	v_fma_f64 v[54:55], v[64:65], 2.0, -v[20:21]
	v_add_f64 v[60:61], v[52:53], -v[60:61]
	v_fma_f64 v[50:51], v[50:51], 2.0, -v[28:29]
	v_fma_f64 v[20:21], v[20:21], 2.0, -v[26:27]
	s_waitcnt lgkmcnt(0)
	v_mul_f64 v[38:39], v[114:115], v[146:147]
	v_fma_f64 v[0:1], v[40:41], v[152:153], -v[0:1]
	v_fma_f64 v[16:17], v[16:17], 2.0, -v[42:43]
	v_add_f64 v[24:25], v[42:43], -v[24:25]
	v_add_f64 v[62:63], v[54:55], -v[62:63]
	v_fma_f64 v[52:53], v[52:53], 2.0, -v[60:61]
	v_mul_f64 v[40:41], v[112:113], v[146:147]
	v_add_f64 v[190:191], v[48:49], v[60:61]
	v_fma_f64 v[38:39], v[112:113], v[144:145], -v[38:39]
	v_add_f64 v[46:47], v[16:17], -v[46:47]
	v_fma_f64 v[42:43], v[42:43], 2.0, -v[24:25]
	v_fma_f64 v[54:55], v[54:55], 2.0, -v[62:63]
	v_fma_f64 v[40:41], v[114:115], v[144:145], v[40:41]
	v_fma_f64 v[202:203], v[48:49], 2.0, -v[190:191]
	v_fma_f64 v[16:17], v[16:17], 2.0, -v[46:47]
	v_add_f64 v[188:189], v[46:47], -v[62:63]
	v_add_f64 v[182:183], v[18:19], -v[54:55]
	;; [unrolled: 1-line block ×3, first 2 shown]
	v_fma_f64 v[200:201], v[46:47], 2.0, -v[188:189]
	v_fma_f64 v[178:179], v[18:19], 2.0, -v[182:183]
	v_fma_f64 v[18:19], v[20:21], s[2:3], v[44:45]
	v_fma_f64 v[176:177], v[16:17], 2.0, -v[180:181]
	v_fma_f64 v[16:17], v[50:51], s[2:3], v[42:43]
	v_fma_f64 v[186:187], v[50:51], s[8:9], v[18:19]
	;; [unrolled: 1-line block ×5, first 2 shown]
	v_add_f64 v[20:21], v[8:9], -v[34:35]
	v_fma_f64 v[194:195], v[28:29], s[8:9], v[18:19]
	v_add_f64 v[28:29], v[0:1], -v[38:39]
	v_fma_f64 v[18:19], v[210:211], 2.0, -v[14:15]
	v_fma_f64 v[198:199], v[44:45], 2.0, -v[186:187]
	;; [unrolled: 1-line block ×3, first 2 shown]
	v_fma_f64 v[192:193], v[26:27], s[2:3], v[16:17]
	v_add_f64 v[26:27], v[6:7], -v[32:33]
	v_fma_f64 v[206:207], v[22:23], 2.0, -v[194:195]
	v_add_f64 v[22:23], v[10:11], -v[36:37]
	v_fma_f64 v[16:17], v[208:209], 2.0, -v[12:13]
	v_fma_f64 v[8:9], v[8:9], 2.0, -v[20:21]
	;; [unrolled: 1-line block ×3, first 2 shown]
	v_add_f64 v[20:21], v[14:15], v[20:21]
	v_fma_f64 v[204:205], v[24:25], 2.0, -v[192:193]
	v_add_f64 v[24:25], v[4:5], -v[30:31]
	v_add_f64 v[30:31], v[2:3], -v[40:41]
	v_fma_f64 v[10:11], v[10:11], 2.0, -v[22:23]
	v_fma_f64 v[6:7], v[6:7], 2.0, -v[26:27]
	v_add_f64 v[8:9], v[16:17], -v[8:9]
	v_add_f64 v[22:23], v[12:13], -v[22:23]
	v_add_f64 v[28:29], v[26:27], v[28:29]
	v_fma_f64 v[14:15], v[14:15], 2.0, -v[20:21]
	v_fma_f64 v[4:5], v[4:5], 2.0, -v[24:25]
	;; [unrolled: 1-line block ×3, first 2 shown]
	v_add_f64 v[10:11], v[18:19], -v[10:11]
	v_add_f64 v[30:31], v[24:25], -v[30:31]
	v_fma_f64 v[16:17], v[16:17], 2.0, -v[8:9]
	v_fma_f64 v[12:13], v[12:13], 2.0, -v[22:23]
	;; [unrolled: 1-line block ×3, first 2 shown]
	v_add_f64 v[0:1], v[4:5], -v[0:1]
	v_add_f64 v[2:3], v[6:7], -v[2:3]
	v_fma_f64 v[18:19], v[18:19], 2.0, -v[10:11]
	v_fma_f64 v[24:25], v[24:25], 2.0, -v[30:31]
	;; [unrolled: 1-line block ×4, first 2 shown]
	v_add_f64 v[228:229], v[8:9], -v[2:3]
	v_add_f64 v[230:231], v[10:11], v[0:1]
	v_fma_f64 v[0:1], v[30:31], s[8:9], v[22:23]
	v_fma_f64 v[2:3], v[28:29], s[8:9], v[20:21]
	v_add_f64 v[212:213], v[16:17], -v[4:5]
	v_add_f64 v[214:215], v[18:19], -v[6:7]
	v_fma_f64 v[4:5], v[24:25], s[2:3], v[12:13]
	v_fma_f64 v[6:7], v[26:27], s[2:3], v[14:15]
	;; [unrolled: 1-line block ×4, first 2 shown]
	v_fma_f64 v[220:221], v[8:9], 2.0, -v[228:229]
	v_fma_f64 v[222:223], v[10:11], 2.0, -v[230:231]
	;; [unrolled: 1-line block ×4, first 2 shown]
	v_fma_f64 v[224:225], v[26:27], s[2:3], v[4:5]
	v_fma_f64 v[226:227], v[24:25], s[8:9], v[6:7]
	v_fma_f64 v[236:237], v[22:23], 2.0, -v[232:233]
	v_fma_f64 v[238:239], v[20:21], 2.0, -v[234:235]
	;; [unrolled: 1-line block ×4, first 2 shown]
	ds_write_b128 v69, v[176:179]
	ds_write_b128 v69, v[196:199] offset:3264
	ds_write_b128 v69, v[200:203] offset:6528
	;; [unrolled: 1-line block ×15, first 2 shown]
	s_waitcnt lgkmcnt(0)
	s_barrier
	s_and_saveexec_b64 s[8:9], vcc
	s_cbranch_execz .LBB0_13
; %bb.12:
	s_add_u32 s10, s12, 0x6600
	s_addc_u32 s11, s13, 0
	global_load_dwordx4 v[6:9], v68, s[10:11]
	ds_read_b128 v[2:5], v69
	v_add_co_u32_e64 v1, s[2:3], s10, v68
	v_mov_b32_e32 v0, s11
	v_addc_co_u32_e64 v0, s[2:3], 0, v0, s[2:3]
	s_movk_i32 s2, 0x1000
	v_add_co_u32_e64 v14, s[2:3], s2, v1
	v_addc_co_u32_e64 v15, s[2:3], 0, v0, s[2:3]
	s_movk_i32 s2, 0x2000
	s_waitcnt vmcnt(0) lgkmcnt(0)
	v_mul_f64 v[10:11], v[4:5], v[8:9]
	v_fma_f64 v[10:11], v[2:3], v[6:7], -v[10:11]
	v_mul_f64 v[2:3], v[2:3], v[8:9]
	v_fma_f64 v[12:13], v[4:5], v[6:7], v[2:3]
	global_load_dwordx4 v[6:9], v68, s[10:11] offset:1536
	ds_write_b128 v69, v[10:13]
	ds_read_b128 v[2:5], v68 offset:1536
	s_waitcnt vmcnt(0) lgkmcnt(0)
	v_mul_f64 v[10:11], v[4:5], v[8:9]
	v_fma_f64 v[10:11], v[2:3], v[6:7], -v[10:11]
	v_mul_f64 v[2:3], v[2:3], v[8:9]
	v_fma_f64 v[12:13], v[4:5], v[6:7], v[2:3]
	ds_read_b128 v[2:5], v68 offset:3072
	global_load_dwordx4 v[6:9], v68, s[10:11] offset:3072
	ds_write_b128 v68, v[10:13] offset:1536
	s_waitcnt vmcnt(0) lgkmcnt(1)
	v_mul_f64 v[10:11], v[4:5], v[8:9]
	v_fma_f64 v[10:11], v[2:3], v[6:7], -v[10:11]
	v_mul_f64 v[2:3], v[2:3], v[8:9]
	v_fma_f64 v[12:13], v[4:5], v[6:7], v[2:3]
	global_load_dwordx4 v[6:9], v[14:15], off offset:512
	ds_read_b128 v[2:5], v68 offset:4608
	ds_write_b128 v68, v[10:13] offset:3072
	s_waitcnt vmcnt(0) lgkmcnt(1)
	v_mul_f64 v[10:11], v[4:5], v[8:9]
	v_fma_f64 v[10:11], v[2:3], v[6:7], -v[10:11]
	v_mul_f64 v[2:3], v[2:3], v[8:9]
	v_fma_f64 v[12:13], v[4:5], v[6:7], v[2:3]
	v_or_b32_e32 v6, 0x1800, v68
	global_load_dwordx4 v[6:9], v6, s[10:11]
	ds_read_b128 v[2:5], v68 offset:6144
	ds_write_b128 v68, v[10:13] offset:4608
	s_waitcnt vmcnt(0) lgkmcnt(1)
	v_mul_f64 v[10:11], v[4:5], v[8:9]
	v_fma_f64 v[10:11], v[2:3], v[6:7], -v[10:11]
	v_mul_f64 v[2:3], v[2:3], v[8:9]
	v_fma_f64 v[12:13], v[4:5], v[6:7], v[2:3]
	global_load_dwordx4 v[6:9], v[14:15], off offset:3584
	ds_read_b128 v[2:5], v68 offset:7680
	v_add_co_u32_e64 v14, s[2:3], s2, v1
	v_addc_co_u32_e64 v15, s[2:3], 0, v0, s[2:3]
	s_movk_i32 s2, 0x3000
	ds_write_b128 v68, v[10:13] offset:6144
	s_waitcnt vmcnt(0) lgkmcnt(1)
	v_mul_f64 v[10:11], v[4:5], v[8:9]
	v_fma_f64 v[10:11], v[2:3], v[6:7], -v[10:11]
	v_mul_f64 v[2:3], v[2:3], v[8:9]
	v_fma_f64 v[12:13], v[4:5], v[6:7], v[2:3]
	global_load_dwordx4 v[6:9], v[14:15], off offset:1024
	ds_read_b128 v[2:5], v68 offset:9216
	ds_write_b128 v68, v[10:13] offset:7680
	s_waitcnt vmcnt(0) lgkmcnt(1)
	v_mul_f64 v[10:11], v[4:5], v[8:9]
	v_fma_f64 v[10:11], v[2:3], v[6:7], -v[10:11]
	v_mul_f64 v[2:3], v[2:3], v[8:9]
	v_fma_f64 v[12:13], v[4:5], v[6:7], v[2:3]
	global_load_dwordx4 v[6:9], v[14:15], off offset:2560
	ds_read_b128 v[2:5], v68 offset:10752
	v_add_co_u32_e64 v14, s[2:3], s2, v1
	v_addc_co_u32_e64 v15, s[2:3], 0, v0, s[2:3]
	s_movk_i32 s2, 0x4000
	ds_write_b128 v68, v[10:13] offset:9216
	s_waitcnt vmcnt(0) lgkmcnt(1)
	v_mul_f64 v[10:11], v[4:5], v[8:9]
	v_fma_f64 v[10:11], v[2:3], v[6:7], -v[10:11]
	v_mul_f64 v[2:3], v[2:3], v[8:9]
	v_fma_f64 v[12:13], v[4:5], v[6:7], v[2:3]
	v_or_b32_e32 v6, 0x3000, v68
	global_load_dwordx4 v[6:9], v6, s[10:11]
	ds_read_b128 v[2:5], v68 offset:12288
	ds_write_b128 v68, v[10:13] offset:10752
	s_waitcnt vmcnt(0) lgkmcnt(1)
	v_mul_f64 v[10:11], v[4:5], v[8:9]
	v_fma_f64 v[10:11], v[2:3], v[6:7], -v[10:11]
	v_mul_f64 v[2:3], v[2:3], v[8:9]
	v_fma_f64 v[12:13], v[4:5], v[6:7], v[2:3]
	global_load_dwordx4 v[6:9], v[14:15], off offset:1536
	ds_read_b128 v[2:5], v68 offset:13824
	ds_write_b128 v68, v[10:13] offset:12288
	s_waitcnt vmcnt(0) lgkmcnt(1)
	v_mul_f64 v[10:11], v[4:5], v[8:9]
	v_fma_f64 v[10:11], v[2:3], v[6:7], -v[10:11]
	v_mul_f64 v[2:3], v[2:3], v[8:9]
	v_fma_f64 v[12:13], v[4:5], v[6:7], v[2:3]
	global_load_dwordx4 v[6:9], v[14:15], off offset:3072
	ds_read_b128 v[2:5], v68 offset:15360
	v_add_co_u32_e64 v14, s[2:3], s2, v1
	v_addc_co_u32_e64 v15, s[2:3], 0, v0, s[2:3]
	s_movk_i32 s2, 0x5000
	ds_write_b128 v68, v[10:13] offset:13824
	s_waitcnt vmcnt(0) lgkmcnt(1)
	v_mul_f64 v[10:11], v[4:5], v[8:9]
	v_fma_f64 v[10:11], v[2:3], v[6:7], -v[10:11]
	v_mul_f64 v[2:3], v[2:3], v[8:9]
	v_fma_f64 v[12:13], v[4:5], v[6:7], v[2:3]
	global_load_dwordx4 v[6:9], v[14:15], off offset:512
	ds_read_b128 v[2:5], v68 offset:16896
	ds_write_b128 v68, v[10:13] offset:15360
	s_waitcnt vmcnt(0) lgkmcnt(1)
	v_mul_f64 v[10:11], v[4:5], v[8:9]
	v_fma_f64 v[10:11], v[2:3], v[6:7], -v[10:11]
	v_mul_f64 v[2:3], v[2:3], v[8:9]
	v_fma_f64 v[12:13], v[4:5], v[6:7], v[2:3]
	v_or_b32_e32 v6, 0x4800, v68
	global_load_dwordx4 v[6:9], v6, s[10:11]
	ds_read_b128 v[2:5], v68 offset:18432
	ds_write_b128 v68, v[10:13] offset:16896
	s_waitcnt vmcnt(0) lgkmcnt(1)
	v_mul_f64 v[10:11], v[4:5], v[8:9]
	v_fma_f64 v[10:11], v[2:3], v[6:7], -v[10:11]
	v_mul_f64 v[2:3], v[2:3], v[8:9]
	v_fma_f64 v[12:13], v[4:5], v[6:7], v[2:3]
	global_load_dwordx4 v[6:9], v[14:15], off offset:3584
	ds_read_b128 v[2:5], v68 offset:19968
	ds_write_b128 v68, v[10:13] offset:18432
	s_waitcnt vmcnt(0) lgkmcnt(1)
	v_mul_f64 v[10:11], v[4:5], v[8:9]
	v_fma_f64 v[10:11], v[2:3], v[6:7], -v[10:11]
	v_mul_f64 v[2:3], v[2:3], v[8:9]
	v_fma_f64 v[12:13], v[4:5], v[6:7], v[2:3]
	ds_read_b128 v[2:5], v68 offset:21504
	ds_write_b128 v68, v[10:13] offset:19968
	v_add_co_u32_e64 v10, s[2:3], s2, v1
	v_addc_co_u32_e64 v11, s[2:3], 0, v0, s[2:3]
	global_load_dwordx4 v[6:9], v[10:11], off offset:1024
	s_waitcnt vmcnt(0) lgkmcnt(1)
	v_mul_f64 v[0:1], v[4:5], v[8:9]
	v_fma_f64 v[0:1], v[2:3], v[6:7], -v[0:1]
	v_mul_f64 v[2:3], v[2:3], v[8:9]
	v_fma_f64 v[2:3], v[4:5], v[6:7], v[2:3]
	global_load_dwordx4 v[4:7], v[10:11], off offset:2560
	ds_write_b128 v68, v[0:3] offset:21504
	ds_read_b128 v[0:3], v68 offset:23040
	s_waitcnt vmcnt(0) lgkmcnt(0)
	v_mul_f64 v[8:9], v[2:3], v[6:7]
	v_fma_f64 v[8:9], v[0:1], v[4:5], -v[8:9]
	v_mul_f64 v[0:1], v[0:1], v[6:7]
	v_fma_f64 v[10:11], v[2:3], v[4:5], v[0:1]
	v_or_b32_e32 v4, 0x6000, v68
	global_load_dwordx4 v[4:7], v4, s[10:11]
	ds_read_b128 v[0:3], v68 offset:24576
	ds_write_b128 v68, v[8:11] offset:23040
	s_waitcnt vmcnt(0) lgkmcnt(1)
	v_mul_f64 v[8:9], v[2:3], v[6:7]
	v_fma_f64 v[8:9], v[0:1], v[4:5], -v[8:9]
	v_mul_f64 v[0:1], v[0:1], v[6:7]
	v_fma_f64 v[10:11], v[2:3], v[4:5], v[0:1]
	ds_write_b128 v68, v[8:11] offset:24576
.LBB0_13:
	s_or_b64 exec, exec, s[8:9]
	s_waitcnt lgkmcnt(0)
	s_barrier
	s_and_saveexec_b64 s[2:3], vcc
	s_cbranch_execz .LBB0_15
; %bb.14:
	ds_read_b128 v[176:179], v69
	ds_read_b128 v[196:199], v69 offset:1536
	ds_read_b128 v[200:203], v69 offset:3072
	;; [unrolled: 1-line block ×16, first 2 shown]
.LBB0_15:
	s_or_b64 exec, exec, s[2:3]
	s_waitcnt lgkmcnt(0)
	v_add_f64 v[250:251], v[198:199], -v[174:175]
	s_mov_b32 s38, 0x5d8e7cdc
	s_mov_b32 s39, 0xbfd71e95
	v_add_f64 v[112:113], v[172:173], v[196:197]
	v_add_f64 v[244:245], v[174:175], v[198:199]
	s_mov_b32 s2, 0x370991
	s_mov_b32 s3, 0x3fedd6d0
	v_add_f64 v[248:249], v[196:197], -v[172:173]
	v_mul_f64 v[10:11], v[250:251], s[38:39]
	s_mov_b32 s16, 0x2a9d6da3
	s_mov_b32 s17, 0xbfe58eea
	v_add_f64 v[114:115], v[200:201], v[232:233]
	v_mul_f64 v[56:57], v[244:245], s[2:3]
	v_add_f64 v[252:253], v[202:203], v[234:235]
	s_mov_b32 s8, 0x75d4884
	s_mov_b32 s9, 0x3fe7a5f6
	v_fma_f64 v[0:1], v[112:113], s[2:3], -v[10:11]
	v_add_f64 v[2:3], v[200:201], -v[232:233]
	v_add_f64 v[16:17], v[206:207], -v[230:231]
	s_mov_b32 s46, 0x7c9e640b
	s_mov_b32 s47, 0xbfeca52d
	v_mul_f64 v[60:61], v[252:253], s[8:9]
	v_add_f64 v[246:247], v[228:229], v[204:205]
	v_add_f64 v[14:15], v[230:231], v[206:207]
	;; [unrolled: 1-line block ×3, first 2 shown]
	v_fma_f64 v[0:1], v[248:249], s[38:39], v[56:57]
	v_mul_f64 v[62:63], v[16:17], s[46:47]
	s_mov_b32 s10, 0x2b2883cd
	s_mov_b32 s11, 0x3fdc86fa
	v_add_f64 v[22:23], v[204:205], -v[228:229]
	v_add_f64 v[24:25], v[182:183], -v[226:227]
	v_mul_f64 v[64:65], v[14:15], s[10:11]
	s_mov_b32 s24, 0xeb564b22
	v_add_f64 v[6:7], v[178:179], v[0:1]
	v_add_f64 v[0:1], v[202:203], -v[234:235]
	s_mov_b32 s25, 0xbfefdd0d
	v_add_f64 v[254:255], v[224:225], v[180:181]
	v_add_f64 v[18:19], v[226:227], v[182:183]
	v_mul_f64 v[66:67], v[24:25], s[24:25]
	s_mov_b32 s18, 0x3259b75e
	s_mov_b32 s19, 0x3fb79ee6
	v_add_f64 v[28:29], v[180:181], -v[224:225]
	v_mul_f64 v[58:59], v[0:1], s[16:17]
	v_add_f64 v[32:33], v[186:187], -v[214:215]
	s_mov_b32 s36, 0x923c349f
	v_mul_f64 v[70:71], v[18:19], s[18:19]
	s_mov_b32 s37, 0xbfeec746
	v_add_f64 v[12:13], v[184:185], v[212:213]
	v_add_f64 v[26:27], v[186:187], v[214:215]
	s_mov_b32 s20, 0xc61f0d01
	v_fma_f64 v[8:9], v[114:115], s[8:9], -v[58:59]
	v_mul_f64 v[72:73], v[32:33], s[36:37]
	s_mov_b32 s21, 0xbfd183b1
	v_add_f64 v[34:35], v[184:185], -v[212:213]
	v_add_f64 v[40:41], v[190:191], -v[238:239]
	s_mov_b32 s30, 0x6c9a05f6
	v_mul_f64 v[74:75], v[26:27], s[20:21]
	s_mov_b32 s31, 0xbfe9895b
	v_add_f64 v[4:5], v[8:9], v[4:5]
	v_fma_f64 v[8:9], v[2:3], s[16:17], v[60:61]
	v_add_f64 v[20:21], v[236:237], v[188:189]
	v_add_f64 v[36:37], v[238:239], v[190:191]
	v_mul_f64 v[76:77], v[40:41], s[30:31]
	v_add_f64 v[42:43], v[188:189], -v[236:237]
	v_add_f64 v[46:47], v[194:195], -v[222:223]
	s_mov_b32 s42, 0x4363dd80
	s_mov_b32 s43, 0xbfe0d888
	v_add_f64 v[6:7], v[8:9], v[6:7]
	v_fma_f64 v[8:9], v[246:247], s[10:11], -v[62:63]
	v_mul_f64 v[78:79], v[36:37], s[26:27]
	v_add_f64 v[30:31], v[192:193], v[220:221]
	v_add_f64 v[44:45], v[194:195], v[222:223]
	v_mul_f64 v[80:81], v[46:47], s[42:43]
	s_mov_b32 s28, 0x910ea3b9
	s_mov_b32 s29, 0xbfeb34fa
	v_add_f64 v[50:51], v[192:193], -v[220:221]
	v_add_f64 v[4:5], v[8:9], v[4:5]
	v_fma_f64 v[8:9], v[22:23], s[46:47], v[64:65]
	v_add_f64 v[52:53], v[210:211], -v[218:219]
	v_mul_f64 v[82:83], v[44:45], s[28:29]
	s_mov_b32 s40, 0xacd6c6b4
	s_mov_b32 s41, 0xbfc7851a
	v_add_f64 v[38:39], v[208:209], v[216:217]
	v_add_f64 v[48:49], v[210:211], v[218:219]
	s_mov_b32 s34, 0x7faef3
	v_add_f64 v[6:7], v[8:9], v[6:7]
	v_fma_f64 v[8:9], v[254:255], s[18:19], -v[66:67]
	v_mul_f64 v[84:85], v[52:53], s[40:41]
	s_mov_b32 s35, 0xbfef7484
	v_add_f64 v[54:55], v[208:209], -v[216:217]
	v_mul_f64 v[86:87], v[48:49], s[34:35]
	s_barrier
	v_add_f64 v[4:5], v[8:9], v[4:5]
	v_fma_f64 v[8:9], v[28:29], s[24:25], v[70:71]
	v_add_f64 v[6:7], v[8:9], v[6:7]
	v_fma_f64 v[8:9], v[12:13], s[20:21], -v[72:73]
	v_add_f64 v[4:5], v[8:9], v[4:5]
	v_fma_f64 v[8:9], v[34:35], s[36:37], v[74:75]
	v_add_f64 v[6:7], v[8:9], v[6:7]
	v_fma_f64 v[8:9], v[20:21], s[26:27], -v[76:77]
	;; [unrolled: 4-line block ×4, first 2 shown]
	v_add_f64 v[240:241], v[8:9], v[4:5]
	v_fma_f64 v[4:5], v[54:55], s[40:41], v[86:87]
	v_add_f64 v[242:243], v[4:5], v[6:7]
	s_and_saveexec_b64 s[22:23], vcc
	s_cbranch_execz .LBB0_17
; %bb.16:
	buffer_store_dword v10, off, s[60:63], 0 offset:536 ; 4-byte Folded Spill
	s_nop 0
	buffer_store_dword v11, off, s[60:63], 0 offset:540 ; 4-byte Folded Spill
	buffer_store_dword v60, off, s[60:63], 0 offset:560 ; 4-byte Folded Spill
	s_nop 0
	buffer_store_dword v61, off, s[60:63], 0 offset:564 ; 4-byte Folded Spill
	;; [unrolled: 3-line block ×5, first 2 shown]
	v_mul_f64 v[60:61], v[248:249], s[40:41]
	v_mul_f64 v[66:67], v[250:251], s[40:41]
	s_mov_b32 s49, 0x3fd71e95
	s_mov_b32 s48, s38
	buffer_store_dword v70, off, s[60:63], 0 offset:624 ; 4-byte Folded Spill
	s_nop 0
	buffer_store_dword v71, off, s[60:63], 0 offset:628 ; 4-byte Folded Spill
	buffer_store_dword v56, off, s[60:63], 0 offset:676 ; 4-byte Folded Spill
	s_nop 0
	buffer_store_dword v57, off, s[60:63], 0 offset:680 ; 4-byte Folded Spill
	buffer_store_dword v58, off, s[60:63], 0 offset:668 ; 4-byte Folded Spill
	s_nop 0
	buffer_store_dword v59, off, s[60:63], 0 offset:672 ; 4-byte Folded Spill
	buffer_store_dword v72, off, s[60:63], 0 offset:584 ; 4-byte Folded Spill
	s_nop 0
	buffer_store_dword v73, off, s[60:63], 0 offset:588 ; 4-byte Folded Spill
	buffer_store_dword v74, off, s[60:63], 0 offset:608 ; 4-byte Folded Spill
	s_nop 0
	buffer_store_dword v75, off, s[60:63], 0 offset:612 ; 4-byte Folded Spill
	buffer_store_dword v76, off, s[60:63], 0 offset:568 ; 4-byte Folded Spill
	s_nop 0
	buffer_store_dword v77, off, s[60:63], 0 offset:572 ; 4-byte Folded Spill
	v_mul_f64 v[70:71], v[2:3], s[48:49]
	v_fma_f64 v[58:59], v[244:245], s[34:35], v[60:61]
	v_mul_f64 v[74:75], v[0:1], s[48:49]
	v_fma_f64 v[76:77], v[112:113], s[34:35], -v[66:67]
	v_fma_f64 v[60:61], v[244:245], s[34:35], -v[60:61]
	buffer_store_dword v78, off, s[60:63], 0 offset:576 ; 4-byte Folded Spill
	s_nop 0
	buffer_store_dword v79, off, s[60:63], 0 offset:580 ; 4-byte Folded Spill
	buffer_store_dword v80, off, s[60:63], 0 offset:632 ; 4-byte Folded Spill
	s_nop 0
	buffer_store_dword v81, off, s[60:63], 0 offset:636 ; 4-byte Folded Spill
	;; [unrolled: 3-line block ×5, first 2 shown]
	v_mul_f64 v[72:73], v[22:23], s[42:43]
	v_fma_f64 v[78:79], v[252:253], s[2:3], v[70:71]
	v_add_f64 v[58:59], v[178:179], v[58:59]
	v_mul_f64 v[84:85], v[16:17], s[42:43]
	v_fma_f64 v[86:87], v[114:115], s[2:3], -v[74:75]
	v_add_f64 v[76:77], v[176:177], v[76:77]
	v_fma_f64 v[70:71], v[252:253], s[2:3], -v[70:71]
	v_add_f64 v[60:61], v[178:179], v[60:61]
	s_mov_b32 s53, 0x3fe58eea
	s_mov_b32 s52, s16
	v_mul_f64 v[80:81], v[28:29], s[52:53]
	v_fma_f64 v[82:83], v[14:15], s[28:29], v[72:73]
	v_add_f64 v[58:59], v[78:79], v[58:59]
	v_fma_f64 v[66:67], v[112:113], s[34:35], v[66:67]
	v_mul_f64 v[88:89], v[24:25], s[52:53]
	v_fma_f64 v[90:91], v[246:247], s[28:29], -v[84:85]
	v_add_f64 v[76:77], v[86:87], v[76:77]
	v_fma_f64 v[72:73], v[14:15], s[28:29], -v[72:73]
	v_add_f64 v[60:61], v[70:71], v[60:61]
	v_mul_f64 v[10:11], v[34:35], s[30:31]
	v_fma_f64 v[78:79], v[18:19], s[8:9], v[80:81]
	v_add_f64 v[58:59], v[82:83], v[58:59]
	v_fma_f64 v[70:71], v[114:115], s[2:3], v[74:75]
	v_add_f64 v[66:67], v[176:177], v[66:67]
	v_mul_f64 v[74:75], v[32:33], s[30:31]
	v_fma_f64 v[82:83], v[254:255], s[8:9], -v[88:89]
	v_add_f64 v[76:77], v[90:91], v[76:77]
	v_fma_f64 v[80:81], v[18:19], s[8:9], -v[80:81]
	v_add_f64 v[60:61], v[72:73], v[60:61]
	s_mov_b32 s45, 0x3feca52d
	s_mov_b32 s44, s46
	v_mul_f64 v[6:7], v[42:43], s[44:45]
	v_fma_f64 v[56:57], v[26:27], s[26:27], v[10:11]
	v_add_f64 v[58:59], v[78:79], v[58:59]
	v_fma_f64 v[72:73], v[246:247], s[28:29], v[84:85]
	v_add_f64 v[66:67], v[70:71], v[66:67]
	v_mul_f64 v[70:71], v[40:41], s[44:45]
	v_fma_f64 v[78:79], v[12:13], s[26:27], -v[74:75]
	v_add_f64 v[76:77], v[82:83], v[76:77]
	v_fma_f64 v[10:11], v[26:27], s[26:27], -v[10:11]
	v_add_f64 v[60:61], v[80:81], v[60:61]
	v_mul_f64 v[4:5], v[50:51], s[36:37]
	v_fma_f64 v[64:65], v[36:37], s[10:11], v[6:7]
	v_add_f64 v[56:57], v[56:57], v[58:59]
	v_fma_f64 v[58:59], v[254:255], s[8:9], v[88:89]
	v_add_f64 v[66:67], v[72:73], v[66:67]
	v_mul_f64 v[72:73], v[46:47], s[36:37]
	v_fma_f64 v[80:81], v[20:21], s[10:11], -v[70:71]
	v_add_f64 v[76:77], v[78:79], v[76:77]
	v_fma_f64 v[6:7], v[36:37], s[10:11], -v[6:7]
	v_add_f64 v[10:11], v[10:11], v[60:61]
	s_mov_b32 s57, 0x3fefdd0d
	s_mov_b32 s56, s24
	v_mul_f64 v[8:9], v[54:55], s[56:57]
	v_fma_f64 v[62:63], v[44:45], s[20:21], v[4:5]
	v_add_f64 v[56:57], v[64:65], v[56:57]
	v_fma_f64 v[60:61], v[12:13], s[26:27], v[74:75]
	v_add_f64 v[58:59], v[58:59], v[66:67]
	v_mul_f64 v[64:65], v[52:53], s[56:57]
	v_fma_f64 v[66:67], v[30:31], s[20:21], -v[72:73]
	v_add_f64 v[74:75], v[80:81], v[76:77]
	v_fma_f64 v[4:5], v[44:45], s[20:21], -v[4:5]
	v_add_f64 v[6:7], v[6:7], v[10:11]
	v_fma_f64 v[10:11], v[48:49], s[18:19], v[8:9]
	v_add_f64 v[56:57], v[62:63], v[56:57]
	v_add_f64 v[58:59], v[60:61], v[58:59]
	v_fma_f64 v[60:61], v[38:39], s[18:19], -v[64:65]
	v_fma_f64 v[8:9], v[48:49], s[18:19], -v[8:9]
	v_add_f64 v[62:63], v[66:67], v[74:75]
	v_mul_f64 v[78:79], v[22:23], s[24:25]
	v_add_f64 v[4:5], v[4:5], v[6:7]
	v_fma_f64 v[6:7], v[30:31], s[20:21], v[72:73]
	v_add_f64 v[74:75], v[10:11], v[56:57]
	v_mul_f64 v[84:85], v[0:1], s[44:45]
	s_mov_b32 s59, 0x3fe9895b
	s_mov_b32 s58, s30
	v_add_f64 v[72:73], v[60:61], v[62:63]
	buffer_store_dword v72, off, s[60:63], 0 offset:648 ; 4-byte Folded Spill
	s_nop 0
	buffer_store_dword v73, off, s[60:63], 0 offset:652 ; 4-byte Folded Spill
	buffer_store_dword v74, off, s[60:63], 0 offset:656 ; 4-byte Folded Spill
	;; [unrolled: 1-line block ×3, first 2 shown]
	v_add_f64 v[130:131], v[8:9], v[4:5]
	v_mul_f64 v[4:5], v[248:249], s[42:43]
	v_fma_f64 v[8:9], v[38:39], s[18:19], v[64:65]
	v_mul_f64 v[62:63], v[2:3], s[44:45]
	v_mul_f64 v[72:73], v[250:251], s[42:43]
	v_fma_f64 v[70:71], v[20:21], s[10:11], v[70:71]
	v_mul_f64 v[74:75], v[28:29], s[58:59]
	v_fma_f64 v[90:91], v[14:15], s[18:19], v[78:79]
	v_fma_f64 v[92:93], v[114:115], s[10:11], -v[84:85]
	v_fma_f64 v[64:65], v[244:245], s[28:29], v[4:5]
	v_fma_f64 v[4:5], v[244:245], s[28:29], -v[4:5]
	;; [unrolled: 2-line block ×4, first 2 shown]
	v_fma_f64 v[84:85], v[114:115], s[10:11], v[84:85]
	v_add_f64 v[58:59], v[70:71], v[58:59]
	v_add_f64 v[64:65], v[178:179], v[64:65]
	;; [unrolled: 1-line block ×3, first 2 shown]
	v_mul_f64 v[60:61], v[34:35], s[38:39]
	v_fma_f64 v[88:89], v[18:19], s[26:27], v[74:75]
	v_add_f64 v[72:73], v[176:177], v[72:73]
	v_add_f64 v[86:87], v[176:177], v[86:87]
	v_fma_f64 v[78:79], v[14:15], s[18:19], -v[78:79]
	buffer_store_dword v94, off, s[60:63], 0 offset:504 ; 4-byte Folded Spill
	s_nop 0
	buffer_store_dword v95, off, s[60:63], 0 offset:508 ; 4-byte Folded Spill
	buffer_store_dword v96, off, s[60:63], 0 offset:512 ; 4-byte Folded Spill
	;; [unrolled: 1-line block ×3, first 2 shown]
	v_add_f64 v[64:65], v[80:81], v[64:65]
	v_mul_f64 v[80:81], v[16:17], s[24:25]
	v_add_f64 v[4:5], v[62:63], v[4:5]
	v_add_f64 v[6:7], v[6:7], v[58:59]
	;; [unrolled: 1-line block ×3, first 2 shown]
	v_mul_f64 v[58:59], v[42:43], s[40:41]
	v_fma_f64 v[82:83], v[26:27], s[2:3], v[60:61]
	v_add_f64 v[86:87], v[92:93], v[86:87]
	v_add_f64 v[64:65], v[90:91], v[64:65]
	v_mul_f64 v[90:91], v[24:25], s[58:59]
	v_fma_f64 v[62:63], v[246:247], s[18:19], v[80:81]
	v_fma_f64 v[94:95], v[246:247], s[18:19], -v[80:81]
	v_mul_f64 v[80:81], v[32:33], s[38:39]
	v_fma_f64 v[74:75], v[18:19], s[26:27], -v[74:75]
	v_add_f64 v[4:5], v[78:79], v[4:5]
	v_mul_f64 v[70:71], v[50:51], s[52:53]
	v_add_f64 v[64:65], v[88:89], v[64:65]
	v_fma_f64 v[78:79], v[254:255], s[26:27], v[90:91]
	v_add_f64 v[62:63], v[62:63], v[72:73]
	v_fma_f64 v[76:77], v[36:37], s[34:35], v[58:59]
	v_fma_f64 v[84:85], v[254:255], s[26:27], -v[90:91]
	v_add_f64 v[86:87], v[94:95], v[86:87]
	v_mul_f64 v[72:73], v[40:41], s[40:41]
	v_fma_f64 v[60:61], v[26:27], s[2:3], -v[60:61]
	v_add_f64 v[64:65], v[82:83], v[64:65]
	v_add_f64 v[4:5], v[74:75], v[4:5]
	v_fma_f64 v[74:75], v[12:13], s[2:3], v[80:81]
	v_add_f64 v[62:63], v[78:79], v[62:63]
	v_mul_f64 v[66:67], v[54:55], s[36:37]
	v_fma_f64 v[56:57], v[44:45], s[8:9], v[70:71]
	v_fma_f64 v[82:83], v[12:13], s[2:3], -v[80:81]
	v_add_f64 v[84:85], v[84:85], v[86:87]
	v_add_f64 v[64:65], v[76:77], v[64:65]
	v_mul_f64 v[76:77], v[46:47], s[52:53]
	v_fma_f64 v[58:59], v[36:37], s[34:35], -v[58:59]
	v_add_f64 v[4:5], v[60:61], v[4:5]
	v_fma_f64 v[60:61], v[20:21], s[34:35], v[72:73]
	v_add_f64 v[62:63], v[74:75], v[62:63]
	buffer_store_dword v128, off, s[60:63], 0 offset:664 ; 4-byte Folded Spill
	v_add_f64 v[128:129], v[8:9], v[6:7]
	v_fma_f64 v[10:11], v[48:49], s[20:21], v[66:67]
	v_fma_f64 v[78:79], v[20:21], s[34:35], -v[72:73]
	v_add_f64 v[80:81], v[82:83], v[84:85]
	v_add_f64 v[56:57], v[56:57], v[64:65]
	;; [unrolled: 1-line block ×3, first 2 shown]
	v_fma_f64 v[58:59], v[30:31], s[8:9], v[76:77]
	v_add_f64 v[60:61], v[60:61], v[62:63]
	buffer_store_dword v128, off, s[60:63], 0 offset:684 ; 4-byte Folded Spill
	s_nop 0
	buffer_store_dword v129, off, s[60:63], 0 offset:688 ; 4-byte Folded Spill
	buffer_store_dword v130, off, s[60:63], 0 offset:692 ; 4-byte Folded Spill
	;; [unrolled: 1-line block ×3, first 2 shown]
	v_fma_f64 v[72:73], v[30:31], s[8:9], -v[76:77]
	v_fma_f64 v[70:71], v[44:45], s[8:9], -v[70:71]
	v_add_f64 v[74:75], v[78:79], v[80:81]
	v_add_f64 v[130:131], v[10:11], v[56:57]
	v_fma_f64 v[10:11], v[48:49], s[20:21], -v[66:67]
	v_mul_f64 v[66:67], v[250:251], s[30:31]
	v_add_f64 v[58:59], v[58:59], v[60:61]
	v_mul_f64 v[60:61], v[248:249], s[30:31]
	s_mov_b32 s51, 0x3feec746
	s_mov_b32 s50, s36
	v_add_f64 v[8:9], v[72:73], v[74:75]
	v_add_f64 v[4:5], v[70:71], v[4:5]
	v_mul_f64 v[70:71], v[2:3], s[50:51]
	v_mul_f64 v[82:83], v[0:1], s[50:51]
	v_fma_f64 v[84:85], v[112:113], s[26:27], -v[66:67]
	v_fma_f64 v[74:75], v[244:245], s[26:27], v[60:61]
	v_mul_f64 v[78:79], v[22:23], s[38:39]
	v_fma_f64 v[60:61], v[244:245], s[26:27], -v[60:61]
	v_mul_f64 v[92:93], v[16:17], s[38:39]
	buffer_store_dword v98, off, s[60:63], 0 offset:520 ; 4-byte Folded Spill
	s_nop 0
	buffer_store_dword v99, off, s[60:63], 0 offset:524 ; 4-byte Folded Spill
	buffer_store_dword v100, off, s[60:63], 0 offset:528 ; 4-byte Folded Spill
	;; [unrolled: 1-line block ×3, first 2 shown]
	v_fma_f64 v[86:87], v[252:253], s[20:21], v[70:71]
	v_fma_f64 v[94:95], v[114:115], s[20:21], -v[82:83]
	v_add_f64 v[84:85], v[176:177], v[84:85]
	v_add_f64 v[74:75], v[178:179], v[74:75]
	v_mul_f64 v[88:89], v[28:29], s[42:43]
	v_fma_f64 v[90:91], v[14:15], s[2:3], v[78:79]
	v_fma_f64 v[70:71], v[252:253], s[20:21], -v[70:71]
	v_add_f64 v[60:61], v[178:179], v[60:61]
	v_mul_f64 v[98:99], v[24:25], s[42:43]
	v_fma_f64 v[100:101], v[246:247], s[2:3], -v[92:93]
	v_add_f64 v[84:85], v[94:95], v[84:85]
	v_add_f64 v[74:75], v[86:87], v[74:75]
	v_mul_f64 v[64:65], v[52:53], s[36:37]
	v_mul_f64 v[86:87], v[34:35], s[56:57]
	v_fma_f64 v[96:97], v[18:19], s[28:29], v[88:89]
	v_fma_f64 v[78:79], v[14:15], s[2:3], -v[78:79]
	v_add_f64 v[60:61], v[70:71], v[60:61]
	v_fma_f64 v[66:67], v[112:113], s[26:27], v[66:67]
	v_fma_f64 v[94:95], v[254:255], s[28:29], -v[98:99]
	v_add_f64 v[70:71], v[90:91], v[74:75]
	v_mul_f64 v[90:91], v[32:33], s[56:57]
	v_add_f64 v[84:85], v[100:101], v[84:85]
	v_fma_f64 v[6:7], v[38:39], s[20:21], -v[64:65]
	v_fma_f64 v[56:57], v[38:39], s[20:21], v[64:65]
	v_mul_f64 v[64:65], v[42:43], s[16:17]
	v_fma_f64 v[74:75], v[26:27], s[18:19], v[86:87]
	v_fma_f64 v[88:89], v[18:19], s[28:29], -v[88:89]
	v_add_f64 v[60:61], v[78:79], v[60:61]
	v_add_f64 v[70:71], v[96:97], v[70:71]
	v_fma_f64 v[78:79], v[114:115], s[20:21], v[82:83]
	v_add_f64 v[66:67], v[176:177], v[66:67]
	v_mul_f64 v[82:83], v[40:41], s[16:17]
	v_fma_f64 v[96:97], v[12:13], s[18:19], -v[90:91]
	v_add_f64 v[84:85], v[94:95], v[84:85]
	v_mul_f64 v[62:63], v[50:51], s[40:41]
	v_fma_f64 v[80:81], v[36:37], s[8:9], v[64:65]
	v_fma_f64 v[86:87], v[26:27], s[18:19], -v[86:87]
	v_add_f64 v[60:61], v[88:89], v[60:61]
	v_add_f64 v[70:71], v[74:75], v[70:71]
	v_fma_f64 v[74:75], v[246:247], s[2:3], v[92:93]
	v_add_f64 v[66:67], v[78:79], v[66:67]
	v_mul_f64 v[78:79], v[46:47], s[40:41]
	v_fma_f64 v[88:89], v[20:21], s[8:9], -v[82:83]
	v_add_f64 v[84:85], v[96:97], v[84:85]
	v_mul_f64 v[72:73], v[54:55], s[44:45]
	v_fma_f64 v[76:77], v[44:45], s[34:35], v[62:63]
	v_fma_f64 v[64:65], v[36:37], s[8:9], -v[64:65]
	v_add_f64 v[60:61], v[86:87], v[60:61]
	v_add_f64 v[70:71], v[80:81], v[70:71]
	v_fma_f64 v[80:81], v[254:255], s[28:29], v[98:99]
	v_add_f64 v[66:67], v[74:75], v[66:67]
	v_mul_f64 v[74:75], v[52:53], s[44:45]
	v_fma_f64 v[86:87], v[30:31], s[34:35], -v[78:79]
	v_add_f64 v[84:85], v[88:89], v[84:85]
	v_add_f64 v[128:129], v[6:7], v[8:9]
	v_add_f64 v[60:61], v[64:65], v[60:61]
	v_fma_f64 v[64:65], v[48:49], s[10:11], v[72:73]
	v_add_f64 v[70:71], v[76:77], v[70:71]
	v_add_f64 v[66:67], v[80:81], v[66:67]
	v_fma_f64 v[76:77], v[38:39], s[10:11], -v[74:75]
	v_fma_f64 v[6:7], v[20:21], s[8:9], v[82:83]
	v_add_f64 v[80:81], v[86:87], v[84:85]
	v_add_f64 v[84:85], v[10:11], v[4:5]
	v_add_f64 v[82:83], v[56:57], v[58:59]
	v_fma_f64 v[62:63], v[44:45], s[34:35], -v[62:63]
	v_add_f64 v[58:59], v[64:65], v[70:71]
	v_fma_f64 v[88:89], v[12:13], s[18:19], v[90:91]
	buffer_store_dword v128, off, s[60:63], 0 offset:700 ; 4-byte Folded Spill
	s_nop 0
	buffer_store_dword v129, off, s[60:63], 0 offset:704 ; 4-byte Folded Spill
	buffer_store_dword v130, off, s[60:63], 0 offset:708 ; 4-byte Folded Spill
	;; [unrolled: 1-line block ×4, first 2 shown]
	s_nop 0
	buffer_store_dword v83, off, s[60:63], 0 offset:736 ; 4-byte Folded Spill
	buffer_store_dword v84, off, s[60:63], 0 offset:740 ; 4-byte Folded Spill
	;; [unrolled: 1-line block ×3, first 2 shown]
	v_add_f64 v[56:57], v[76:77], v[80:81]
	buffer_store_dword v56, off, s[60:63], 0 offset:716 ; 4-byte Folded Spill
	s_nop 0
	buffer_store_dword v57, off, s[60:63], 0 offset:720 ; 4-byte Folded Spill
	buffer_store_dword v58, off, s[60:63], 0 offset:724 ; 4-byte Folded Spill
	;; [unrolled: 1-line block ×3, first 2 shown]
	v_fma_f64 v[72:73], v[48:49], s[10:11], -v[72:73]
	v_add_f64 v[60:61], v[62:63], v[60:61]
	v_add_f64 v[8:9], v[88:89], v[66:67]
	v_mul_f64 v[4:5], v[248:249], s[36:37]
	v_mul_f64 v[58:59], v[250:251], s[36:37]
	s_mov_b32 s55, 0x3fe0d888
	s_mov_b32 s54, s42
	v_mul_f64 v[70:71], v[0:1], s[54:55]
	v_mul_f64 v[64:65], v[22:23], s[52:53]
	v_add_f64 v[96:97], v[72:73], v[60:61]
	v_add_f64 v[6:7], v[6:7], v[8:9]
	v_mul_f64 v[8:9], v[2:3], s[54:55]
	v_fma_f64 v[60:61], v[244:245], s[20:21], v[4:5]
	v_fma_f64 v[72:73], v[112:113], s[20:21], -v[58:59]
	v_mul_f64 v[82:83], v[16:17], s[52:53]
	v_fma_f64 v[84:85], v[114:115], s[28:29], -v[70:71]
	v_fma_f64 v[10:11], v[30:31], s[34:35], v[78:79]
	v_mul_f64 v[78:79], v[28:29], s[46:47]
	v_fma_f64 v[80:81], v[14:15], s[8:9], v[64:65]
	v_fma_f64 v[66:67], v[252:253], s[28:29], v[8:9]
	v_add_f64 v[60:61], v[178:179], v[60:61]
	v_add_f64 v[72:73], v[176:177], v[72:73]
	v_mul_f64 v[88:89], v[24:25], s[46:47]
	v_fma_f64 v[92:93], v[246:247], s[8:9], -v[82:83]
	v_fma_f64 v[4:5], v[244:245], s[20:21], -v[4:5]
	v_fma_f64 v[90:91], v[18:19], s[10:11], v[78:79]
	v_fma_f64 v[8:9], v[252:253], s[28:29], -v[8:9]
	v_fma_f64 v[58:59], v[112:113], s[20:21], v[58:59]
	v_add_f64 v[60:61], v[66:67], v[60:61]
	v_add_f64 v[72:73], v[84:85], v[72:73]
	v_mul_f64 v[66:67], v[34:35], s[40:41]
	v_mul_f64 v[84:85], v[32:33], s[40:41]
	v_fma_f64 v[94:95], v[254:255], s[10:11], -v[88:89]
	v_add_f64 v[4:5], v[178:179], v[4:5]
	v_mul_f64 v[76:77], v[42:43], s[56:57]
	v_fma_f64 v[64:65], v[14:15], s[8:9], -v[64:65]
	v_add_f64 v[60:61], v[80:81], v[60:61]
	v_add_f64 v[72:73], v[92:93], v[72:73]
	v_fma_f64 v[80:81], v[26:27], s[34:35], v[66:67]
	v_fma_f64 v[92:93], v[12:13], s[34:35], -v[84:85]
	v_fma_f64 v[70:71], v[114:115], s[28:29], v[70:71]
	v_add_f64 v[4:5], v[8:9], v[4:5]
	v_add_f64 v[58:59], v[176:177], v[58:59]
	v_mul_f64 v[62:63], v[50:51], s[38:39]
	v_add_f64 v[60:61], v[90:91], v[60:61]
	v_mul_f64 v[90:91], v[40:41], s[56:57]
	v_add_f64 v[8:9], v[94:95], v[72:73]
	v_fma_f64 v[86:87], v[36:37], s[18:19], v[76:77]
	v_mul_f64 v[72:73], v[46:47], s[38:39]
	v_fma_f64 v[78:79], v[18:19], s[10:11], -v[78:79]
	v_add_f64 v[4:5], v[64:65], v[4:5]
	v_fma_f64 v[82:83], v[246:247], s[8:9], v[82:83]
	v_add_f64 v[60:61], v[80:81], v[60:61]
	v_fma_f64 v[80:81], v[20:21], s[18:19], -v[90:91]
	v_add_f64 v[8:9], v[92:93], v[8:9]
	v_add_f64 v[58:59], v[70:71], v[58:59]
	v_fma_f64 v[56:57], v[38:39], s[10:11], v[74:75]
	v_add_f64 v[6:7], v[10:11], v[6:7]
	v_mul_f64 v[10:11], v[54:55], s[30:31]
	v_fma_f64 v[74:75], v[44:45], s[2:3], v[62:63]
	v_add_f64 v[60:61], v[86:87], v[60:61]
	v_mul_f64 v[64:65], v[52:53], s[30:31]
	v_fma_f64 v[70:71], v[30:31], s[2:3], -v[72:73]
	v_fma_f64 v[66:67], v[26:27], s[34:35], -v[66:67]
	v_add_f64 v[4:5], v[78:79], v[4:5]
	v_add_f64 v[8:9], v[80:81], v[8:9]
	v_fma_f64 v[86:87], v[254:255], s[10:11], v[88:89]
	v_add_f64 v[58:59], v[82:83], v[58:59]
	v_fma_f64 v[78:79], v[48:49], s[26:27], v[10:11]
	v_add_f64 v[60:61], v[74:75], v[60:61]
	v_fma_f64 v[74:75], v[38:39], s[26:27], -v[64:65]
	v_fma_f64 v[76:77], v[36:37], s[18:19], -v[76:77]
	v_add_f64 v[4:5], v[66:67], v[4:5]
	v_add_f64 v[8:9], v[70:71], v[8:9]
	v_fma_f64 v[80:81], v[12:13], s[34:35], v[84:85]
	v_add_f64 v[58:59], v[86:87], v[58:59]
	v_add_f64 v[94:95], v[56:57], v[6:7]
	v_fma_f64 v[6:7], v[44:45], s[2:3], -v[62:63]
	v_mul_f64 v[56:57], v[248:249], s[24:25]
	v_mul_f64 v[62:63], v[250:251], s[24:25]
	v_add_f64 v[78:79], v[78:79], v[60:61]
	v_add_f64 v[4:5], v[76:77], v[4:5]
	v_add_f64 v[76:77], v[74:75], v[8:9]
	v_fma_f64 v[60:61], v[20:21], s[18:19], v[90:91]
	v_add_f64 v[58:59], v[80:81], v[58:59]
	v_mul_f64 v[8:9], v[2:3], s[40:41]
	v_fma_f64 v[66:67], v[244:245], s[18:19], v[56:57]
	v_fma_f64 v[70:71], v[30:31], s[2:3], v[72:73]
	v_mul_f64 v[72:73], v[0:1], s[40:41]
	v_fma_f64 v[74:75], v[112:113], s[18:19], -v[62:63]
	buffer_store_dword v94, off, s[60:63], 0 offset:764 ; 4-byte Folded Spill
	s_nop 0
	buffer_store_dword v95, off, s[60:63], 0 offset:768 ; 4-byte Folded Spill
	buffer_store_dword v96, off, s[60:63], 0 offset:772 ; 4-byte Folded Spill
	;; [unrolled: 1-line block ×4, first 2 shown]
	s_nop 0
	buffer_store_dword v77, off, s[60:63], 0 offset:752 ; 4-byte Folded Spill
	buffer_store_dword v78, off, s[60:63], 0 offset:756 ; 4-byte Folded Spill
	;; [unrolled: 1-line block ×3, first 2 shown]
	v_add_f64 v[58:59], v[60:61], v[58:59]
	v_add_f64 v[4:5], v[6:7], v[4:5]
	v_mul_f64 v[6:7], v[22:23], s[50:51]
	v_fma_f64 v[60:61], v[252:253], s[34:35], v[8:9]
	v_add_f64 v[66:67], v[178:179], v[66:67]
	v_mul_f64 v[78:79], v[16:17], s[50:51]
	v_fma_f64 v[80:81], v[114:115], s[34:35], -v[72:73]
	v_add_f64 v[74:75], v[176:177], v[74:75]
	v_add_f64 v[58:59], v[70:71], v[58:59]
	v_mul_f64 v[70:71], v[28:29], s[48:49]
	v_fma_f64 v[76:77], v[14:15], s[20:21], v[6:7]
	v_mul_f64 v[86:87], v[24:25], s[48:49]
	v_add_f64 v[60:61], v[60:61], v[66:67]
	v_fma_f64 v[56:57], v[244:245], s[18:19], -v[56:57]
	v_fma_f64 v[88:89], v[246:247], s[20:21], -v[78:79]
	v_add_f64 v[74:75], v[80:81], v[74:75]
	v_mul_f64 v[82:83], v[34:35], s[46:47]
	v_fma_f64 v[84:85], v[18:19], s[2:3], v[70:71]
	v_mul_f64 v[90:91], v[32:33], s[46:47]
	v_fma_f64 v[8:9], v[252:253], s[34:35], -v[8:9]
	v_add_f64 v[60:61], v[76:77], v[60:61]
	v_add_f64 v[56:57], v[178:179], v[56:57]
	v_fma_f64 v[92:93], v[254:255], s[2:3], -v[86:87]
	v_add_f64 v[74:75], v[88:89], v[74:75]
	v_mul_f64 v[76:77], v[42:43], s[42:43]
	v_fma_f64 v[80:81], v[26:27], s[10:11], v[82:83]
	v_mul_f64 v[94:95], v[40:41], s[42:43]
	v_fma_f64 v[6:7], v[14:15], s[20:21], -v[6:7]
	v_add_f64 v[60:61], v[84:85], v[60:61]
	v_add_f64 v[8:9], v[8:9], v[56:57]
	v_fma_f64 v[56:57], v[12:13], s[10:11], -v[90:91]
	v_add_f64 v[74:75], v[92:93], v[74:75]
	v_fma_f64 v[62:63], v[112:113], s[18:19], v[62:63]
	v_mul_f64 v[84:85], v[50:51], s[58:59]
	v_fma_f64 v[88:89], v[36:37], s[28:29], v[76:77]
	v_mul_f64 v[92:93], v[46:47], s[58:59]
	v_add_f64 v[60:61], v[80:81], v[60:61]
	v_fma_f64 v[70:71], v[18:19], s[2:3], -v[70:71]
	v_add_f64 v[6:7], v[6:7], v[8:9]
	v_fma_f64 v[8:9], v[20:21], s[28:29], -v[94:95]
	v_add_f64 v[56:57], v[56:57], v[74:75]
	v_fma_f64 v[72:73], v[114:115], s[34:35], v[72:73]
	v_add_f64 v[62:63], v[176:177], v[62:63]
	v_mul_f64 v[66:67], v[54:55], s[52:53]
	v_fma_f64 v[80:81], v[44:45], s[26:27], v[84:85]
	v_add_f64 v[60:61], v[88:89], v[60:61]
	v_mul_f64 v[74:75], v[52:53], s[52:53]
	v_fma_f64 v[82:83], v[26:27], s[10:11], -v[82:83]
	v_add_f64 v[6:7], v[70:71], v[6:7]
	v_fma_f64 v[70:71], v[30:31], s[26:27], -v[92:93]
	v_add_f64 v[8:9], v[8:9], v[56:57]
	v_fma_f64 v[78:79], v[246:247], s[20:21], v[78:79]
	v_add_f64 v[62:63], v[72:73], v[62:63]
	v_fma_f64 v[10:11], v[48:49], s[26:27], -v[10:11]
	v_fma_f64 v[64:65], v[38:39], s[26:27], v[64:65]
	v_fma_f64 v[56:57], v[48:49], s[8:9], v[66:67]
	v_add_f64 v[60:61], v[80:81], v[60:61]
	v_fma_f64 v[72:73], v[36:37], s[28:29], -v[76:77]
	v_add_f64 v[6:7], v[82:83], v[6:7]
	v_fma_f64 v[76:77], v[38:39], s[8:9], -v[74:75]
	v_add_f64 v[70:71], v[70:71], v[8:9]
	v_fma_f64 v[80:81], v[254:255], s[2:3], v[86:87]
	v_add_f64 v[62:63], v[78:79], v[62:63]
	v_add_f64 v[10:11], v[10:11], v[4:5]
	;; [unrolled: 1-line block ×3, first 2 shown]
	s_mov_b32 s57, 0x3fc7851a
	v_add_f64 v[64:65], v[72:73], v[6:7]
	v_add_f64 v[6:7], v[56:57], v[60:61]
	;; [unrolled: 1-line block ×3, first 2 shown]
	v_fma_f64 v[56:57], v[12:13], s[10:11], v[90:91]
	v_mul_f64 v[70:71], v[248:249], s[46:47]
	v_add_f64 v[60:61], v[80:81], v[62:63]
	v_fma_f64 v[62:63], v[48:49], s[8:9], -v[66:67]
	v_mul_f64 v[66:67], v[250:251], s[46:47]
	v_mul_f64 v[76:77], v[2:3], s[30:31]
	;; [unrolled: 1-line block ×3, first 2 shown]
	s_mov_b32 s56, s40
	v_fma_f64 v[58:59], v[44:45], s[26:27], -v[84:85]
	v_fma_f64 v[78:79], v[244:245], s[10:11], v[70:71]
	v_add_f64 v[56:57], v[56:57], v[60:61]
	v_fma_f64 v[72:73], v[20:21], s[28:29], v[94:95]
	v_fma_f64 v[60:61], v[112:113], s[10:11], -v[66:67]
	v_mul_f64 v[82:83], v[22:23], s[56:57]
	v_fma_f64 v[84:85], v[252:253], s[26:27], v[76:77]
	v_mul_f64 v[86:87], v[16:17], s[56:57]
	v_fma_f64 v[88:89], v[114:115], s[26:27], -v[80:81]
	v_add_f64 v[78:79], v[178:179], v[78:79]
	v_add_f64 v[58:59], v[58:59], v[64:65]
	v_fma_f64 v[64:65], v[30:31], s[26:27], v[92:93]
	v_add_f64 v[60:61], v[176:177], v[60:61]
	v_add_f64 v[56:57], v[72:73], v[56:57]
	v_fma_f64 v[72:73], v[38:39], s[8:9], v[74:75]
	v_mul_f64 v[74:75], v[28:29], s[50:51]
	v_fma_f64 v[90:91], v[14:15], s[34:35], v[82:83]
	v_add_f64 v[78:79], v[84:85], v[78:79]
	v_mul_f64 v[84:85], v[24:25], s[50:51]
	v_fma_f64 v[92:93], v[246:247], s[34:35], -v[86:87]
	v_add_f64 v[60:61], v[88:89], v[60:61]
	v_fma_f64 v[70:71], v[244:245], s[10:11], -v[70:71]
	v_fma_f64 v[66:67], v[112:113], s[10:11], v[66:67]
	v_add_f64 v[56:57], v[64:65], v[56:57]
	v_add_f64 v[62:63], v[62:63], v[58:59]
	v_mul_f64 v[58:59], v[34:35], s[52:53]
	v_fma_f64 v[64:65], v[18:19], s[20:21], v[74:75]
	v_add_f64 v[78:79], v[90:91], v[78:79]
	v_mul_f64 v[88:89], v[32:33], s[52:53]
	v_fma_f64 v[90:91], v[254:255], s[20:21], -v[84:85]
	v_add_f64 v[92:93], v[92:93], v[60:61]
	v_fma_f64 v[76:77], v[252:253], s[26:27], -v[76:77]
	v_add_f64 v[70:71], v[178:179], v[70:71]
	v_fma_f64 v[80:81], v[114:115], s[26:27], v[80:81]
	v_add_f64 v[66:67], v[176:177], v[66:67]
	v_add_f64 v[60:61], v[72:73], v[56:57]
	v_mul_f64 v[56:57], v[42:43], s[38:39]
	v_fma_f64 v[72:73], v[26:27], s[8:9], v[58:59]
	v_add_f64 v[64:65], v[64:65], v[78:79]
	v_fma_f64 v[94:95], v[12:13], s[8:9], -v[88:89]
	v_add_f64 v[90:91], v[90:91], v[92:93]
	v_mul_f64 v[92:93], v[40:41], s[38:39]
	v_fma_f64 v[82:83], v[14:15], s[34:35], -v[82:83]
	v_add_f64 v[70:71], v[76:77], v[70:71]
	v_add_f64 v[66:67], v[80:81], v[66:67]
	v_fma_f64 v[86:87], v[246:247], s[34:35], v[86:87]
	v_mul_f64 v[78:79], v[50:51], s[24:25]
	v_fma_f64 v[96:97], v[36:37], s[2:3], v[56:57]
	v_add_f64 v[64:65], v[72:73], v[64:65]
	v_mul_f64 v[72:73], v[46:47], s[24:25]
	v_add_f64 v[90:91], v[94:95], v[90:91]
	v_fma_f64 v[94:95], v[20:21], s[2:3], -v[92:93]
	v_add_f64 v[70:71], v[82:83], v[70:71]
	v_fma_f64 v[74:75], v[18:19], s[20:21], -v[74:75]
	v_add_f64 v[86:87], v[86:87], v[66:67]
	v_fma_f64 v[84:85], v[254:255], s[20:21], v[84:85]
	v_mul_f64 v[76:77], v[54:55], s[42:43]
	v_add_f64 v[64:65], v[96:97], v[64:65]
	v_fma_f64 v[96:97], v[44:45], s[18:19], v[78:79]
	v_add_f64 v[90:91], v[94:95], v[90:91]
	v_fma_f64 v[94:95], v[30:31], s[18:19], -v[72:73]
	v_mul_f64 v[80:81], v[52:53], s[42:43]
	v_add_f64 v[70:71], v[74:75], v[70:71]
	v_fma_f64 v[58:59], v[26:27], s[8:9], -v[58:59]
	v_fma_f64 v[88:89], v[12:13], s[8:9], v[88:89]
	v_add_f64 v[84:85], v[84:85], v[86:87]
	v_add_f64 v[64:65], v[96:97], v[64:65]
	v_fma_f64 v[96:97], v[48:49], s[28:29], v[76:77]
	v_add_f64 v[90:91], v[94:95], v[90:91]
	v_fma_f64 v[94:95], v[38:39], s[28:29], -v[80:81]
	v_fma_f64 v[56:57], v[36:37], s[2:3], -v[56:57]
	v_add_f64 v[58:59], v[58:59], v[70:71]
	v_mov_b32_e32 v128, v105
	v_add_f64 v[84:85], v[88:89], v[84:85]
	v_fma_f64 v[88:89], v[20:21], s[2:3], v[92:93]
	v_mov_b32_e32 v105, v107
	v_mov_b32_e32 v107, v104
	v_mov_b32_e32 v104, v102
	v_mov_b32_e32 v129, v106
	v_mov_b32_e32 v106, v103
	v_mul_f64 v[102:103], v[248:249], s[16:17]
	v_add_f64 v[66:67], v[96:97], v[64:65]
	v_add_f64 v[64:65], v[94:95], v[90:91]
	v_mul_f64 v[90:91], v[2:3], s[16:17]
	v_add_f64 v[70:71], v[178:179], v[198:199]
	v_add_f64 v[56:57], v[56:57], v[58:59]
	;; [unrolled: 1-line block ×3, first 2 shown]
	v_mul_f64 v[2:3], v[2:3], s[24:25]
	v_fma_f64 v[84:85], v[244:245], s[8:9], v[102:103]
	v_mul_f64 v[94:95], v[22:23], s[46:47]
	v_mul_f64 v[22:23], v[22:23], s[30:31]
	v_add_f64 v[96:97], v[176:177], v[196:197]
	v_add_f64 v[70:71], v[202:203], v[70:71]
	v_fma_f64 v[78:79], v[44:45], s[18:19], -v[78:79]
	v_fma_f64 v[102:103], v[244:245], s[8:9], -v[102:103]
	v_fma_f64 v[202:203], v[252:253], s[18:19], v[2:3]
	v_add_f64 v[84:85], v[178:179], v[84:85]
	v_mul_f64 v[92:93], v[28:29], s[24:25]
	v_fma_f64 v[76:77], v[48:49], s[28:29], -v[76:77]
	v_add_f64 v[96:97], v[200:201], v[96:97]
	v_add_f64 v[70:71], v[206:207], v[70:71]
	v_mul_f64 v[206:207], v[250:251], s[16:17]
	v_add_f64 v[56:57], v[78:79], v[56:57]
	v_mul_f64 v[28:29], v[28:29], s[40:41]
	v_add_f64 v[84:85], v[202:203], v[84:85]
	v_fma_f64 v[202:203], v[14:15], s[26:27], v[22:23]
	v_fma_f64 v[244:245], v[252:253], s[18:19], -v[2:3]
	v_mul_f64 v[0:1], v[0:1], s[24:25]
	v_add_f64 v[102:103], v[178:179], v[102:103]
	v_mul_f64 v[198:199], v[34:35], s[36:37]
	v_add_f64 v[96:97], v[204:205], v[96:97]
	v_fma_f64 v[14:15], v[14:15], s[26:27], -v[22:23]
	v_fma_f64 v[22:23], v[18:19], s[34:35], v[28:29]
	v_add_f64 v[84:85], v[202:203], v[84:85]
	v_fma_f64 v[202:203], v[112:113], s[8:9], -v[206:207]
	v_add_f64 v[2:3], v[76:77], v[56:57]
	v_fma_f64 v[56:57], v[38:39], s[28:29], v[80:81]
	v_add_f64 v[76:77], v[244:245], v[102:103]
	v_fma_f64 v[80:81], v[114:115], s[18:19], -v[0:1]
	v_mul_f64 v[16:17], v[16:17], s[30:31]
	v_mul_f64 v[34:35], v[34:35], s[54:55]
	v_fma_f64 v[72:73], v[30:31], s[18:19], v[72:73]
	v_add_f64 v[102:103], v[176:177], v[202:203]
	v_mul_f64 v[200:201], v[42:43], s[30:31]
	v_add_f64 v[22:23], v[22:23], v[84:85]
	v_mul_f64 v[42:43], v[42:43], s[50:51]
	v_mul_f64 v[24:25], v[24:25], s[40:41]
	v_fma_f64 v[18:19], v[18:19], s[34:35], -v[28:29]
	v_fma_f64 v[28:29], v[26:27], s[28:29], v[34:35]
	v_add_f64 v[14:15], v[14:15], v[76:77]
	v_add_f64 v[80:81], v[80:81], v[102:103]
	v_fma_f64 v[102:103], v[246:247], s[26:27], -v[16:17]
	v_add_f64 v[96:97], v[180:181], v[96:97]
	v_add_f64 v[58:59], v[72:73], v[58:59]
	v_mul_f64 v[72:73], v[50:51], s[42:43]
	v_mul_f64 v[50:51], v[50:51], s[44:45]
	v_add_f64 v[70:71], v[182:183], v[70:71]
	v_fma_f64 v[180:181], v[36:37], s[20:21], v[42:43]
	v_mul_f64 v[32:33], v[32:33], s[54:55]
	v_fma_f64 v[182:183], v[254:255], s[34:35], -v[24:25]
	v_add_f64 v[80:81], v[102:103], v[80:81]
	v_add_f64 v[22:23], v[28:29], v[22:23]
	v_fma_f64 v[26:27], v[26:27], s[28:29], -v[34:35]
	v_add_f64 v[14:15], v[18:19], v[14:15]
	v_add_f64 v[28:29], v[184:185], v[96:97]
	v_fma_f64 v[76:77], v[44:45], s[10:11], v[50:51]
	v_add_f64 v[18:19], v[186:187], v[70:71]
	v_mul_f64 v[34:35], v[40:41], s[50:51]
	v_fma_f64 v[40:41], v[12:13], s[28:29], -v[32:33]
	v_add_f64 v[70:71], v[182:183], v[80:81]
	v_add_f64 v[22:23], v[180:181], v[22:23]
	v_fma_f64 v[36:37], v[36:37], s[20:21], -v[42:43]
	v_add_f64 v[14:15], v[26:27], v[14:15]
	v_add_f64 v[26:27], v[188:189], v[28:29]
	v_mul_f64 v[98:99], v[248:249], s[38:39]
	v_mul_f64 v[248:249], v[54:55], s[48:49]
	;; [unrolled: 1-line block ×3, first 2 shown]
	v_fma_f64 v[42:43], v[20:21], s[20:21], -v[34:35]
	v_add_f64 v[40:41], v[40:41], v[70:71]
	v_add_f64 v[46:47], v[76:77], v[22:23]
	v_fma_f64 v[22:23], v[44:45], s[10:11], -v[50:51]
	v_add_f64 v[14:15], v[36:37], v[14:15]
	v_add_f64 v[26:27], v[192:193], v[26:27]
	v_fma_f64 v[84:85], v[48:49], s[2:3], v[248:249]
	v_mov_b32_e32 v102, v104
	v_mov_b32_e32 v104, v107
	;; [unrolled: 1-line block ×4, first 2 shown]
	buffer_load_dword v128, off, s[60:63], 0 offset:664 ; 4-byte Folded Reload
	v_mul_f64 v[36:37], v[52:53], s[48:49]
	v_add_f64 v[40:41], v[42:43], v[40:41]
	v_fma_f64 v[42:43], v[48:49], s[2:3], -v[248:249]
	buffer_load_dword v48, off, s[60:63], 0 offset:676 ; 4-byte Folded Reload
	buffer_load_dword v49, off, s[60:63], 0 offset:680 ; 4-byte Folded Reload
	v_add_f64 v[14:15], v[22:23], v[14:15]
	v_add_f64 v[22:23], v[208:209], v[26:27]
	buffer_load_dword v26, off, s[60:63], 0 offset:536 ; 4-byte Folded Reload
	buffer_load_dword v27, off, s[60:63], 0 offset:540 ; 4-byte Folded Reload
	;; [unrolled: 1-line block ×6, first 2 shown]
	v_mul_f64 v[74:75], v[114:115], s[8:9]
	v_mul_f64 v[82:83], v[112:113], s[2:3]
	v_fma_f64 v[50:51], v[112:113], s[8:9], v[206:207]
	v_fma_f64 v[0:1], v[114:115], s[18:19], v[0:1]
	v_mul_f64 v[100:101], v[254:255], s[18:19]
	v_fma_f64 v[16:17], v[246:247], s[26:27], v[16:17]
	v_fma_f64 v[24:25], v[254:255], s[34:35], v[24:25]
	v_mul_f64 v[196:197], v[12:13], s[20:21]
	v_fma_f64 v[12:13], v[12:13], s[28:29], v[32:33]
	v_fma_f64 v[44:45], v[30:31], s[10:11], -v[28:29]
	v_add_f64 v[50:51], v[176:177], v[50:51]
	v_mul_f64 v[88:89], v[20:21], s[26:27]
	v_fma_f64 v[20:21], v[20:21], s[20:21], v[34:35]
	v_add_f64 v[18:19], v[190:191], v[18:19]
	v_mul_f64 v[86:87], v[246:247], s[10:11]
	v_mul_f64 v[78:79], v[30:31], s[28:29]
	;; [unrolled: 1-line block ×4, first 2 shown]
	v_add_f64 v[0:1], v[0:1], v[50:51]
	v_add_f64 v[22:23], v[216:217], v[22:23]
	;; [unrolled: 1-line block ×4, first 2 shown]
	v_mov_b32_e32 v103, v106
	v_mov_b32_e32 v106, v129
	v_add_f64 v[0:1], v[16:17], v[0:1]
	v_add_f64 v[22:23], v[220:221], v[22:23]
	;; [unrolled: 1-line block ×7, first 2 shown]
	v_fma_f64 v[12:13], v[30:31], s[10:11], v[28:29]
	v_add_f64 v[22:23], v[212:213], v[22:23]
	v_add_f64 v[18:19], v[222:223], v[18:19]
	v_fma_f64 v[30:31], v[38:39], s[2:3], v[36:37]
	v_fma_f64 v[36:37], v[38:39], s[2:3], -v[36:37]
	v_add_f64 v[38:39], v[44:45], v[40:41]
	v_add_f64 v[0:1], v[20:21], v[0:1]
	;; [unrolled: 1-line block ×11, first 2 shown]
	s_waitcnt vmcnt(6)
	v_add_f64 v[48:49], v[48:49], -v[98:99]
	s_waitcnt vmcnt(4)
	v_add_f64 v[26:27], v[82:83], v[26:27]
	s_waitcnt vmcnt(2)
	v_add_f64 v[52:53], v[52:53], -v[90:91]
	s_waitcnt vmcnt(0)
	v_add_f64 v[70:71], v[74:75], v[70:71]
	buffer_load_dword v74, off, s[60:63], 0 offset:552 ; 4-byte Folded Reload
	buffer_load_dword v75, off, s[60:63], 0 offset:556 ; 4-byte Folded Reload
	v_add_f64 v[18:19], v[230:231], v[18:19]
	v_add_f64 v[48:49], v[178:179], v[48:49]
	;; [unrolled: 1-line block ×5, first 2 shown]
	s_waitcnt vmcnt(0)
	v_add_f64 v[74:75], v[74:75], -v[94:95]
	buffer_load_dword v94, off, s[60:63], 0 offset:504 ; 4-byte Folded Reload
	buffer_load_dword v95, off, s[60:63], 0 offset:508 ; 4-byte Folded Reload
	;; [unrolled: 1-line block ×10, first 2 shown]
	v_add_f64 v[48:49], v[74:75], v[48:49]
	s_waitcnt vmcnt(4)
	v_add_f64 v[52:53], v[86:87], v[52:53]
	s_waitcnt vmcnt(2)
	v_add_f64 v[50:51], v[50:51], -v[92:93]
	s_waitcnt vmcnt(0)
	v_add_f64 v[70:71], v[100:101], v[70:71]
	buffer_load_dword v98, off, s[60:63], 0 offset:520 ; 4-byte Folded Reload
	buffer_load_dword v99, off, s[60:63], 0 offset:524 ; 4-byte Folded Reload
	;; [unrolled: 1-line block ×6, first 2 shown]
	v_add_f64 v[26:27], v[52:53], v[26:27]
	v_add_f64 v[32:33], v[50:51], v[48:49]
	buffer_load_dword v48, off, s[60:63], 0 offset:584 ; 4-byte Folded Reload
	buffer_load_dword v49, off, s[60:63], 0 offset:588 ; 4-byte Folded Reload
	;; [unrolled: 1-line block ×4, first 2 shown]
	v_add_f64 v[26:27], v[70:71], v[26:27]
	s_waitcnt vmcnt(4)
	v_add_f64 v[16:17], v[16:17], -v[198:199]
	s_waitcnt vmcnt(2)
	v_add_f64 v[48:49], v[196:197], v[48:49]
	s_waitcnt vmcnt(0)
	v_add_f64 v[24:25], v[24:25], -v[200:201]
	v_add_f64 v[16:17], v[16:17], v[32:33]
	buffer_load_dword v32, off, s[60:63], 0 offset:568 ; 4-byte Folded Reload
	buffer_load_dword v33, off, s[60:63], 0 offset:572 ; 4-byte Folded Reload
	;; [unrolled: 1-line block ×4, first 2 shown]
	v_add_f64 v[26:27], v[48:49], v[26:27]
	v_add_f64 v[16:17], v[24:25], v[16:17]
	buffer_load_dword v24, off, s[60:63], 0 offset:632 ; 4-byte Folded Reload
	buffer_load_dword v25, off, s[60:63], 0 offset:636 ; 4-byte Folded Reload
	;; [unrolled: 1-line block ×4, first 2 shown]
	s_waitcnt vmcnt(6)
	v_add_f64 v[32:33], v[88:89], v[32:33]
	s_waitcnt vmcnt(4)
	v_add_f64 v[28:29], v[28:29], -v[72:73]
	s_waitcnt vmcnt(2)
	v_add_f64 v[24:25], v[78:79], v[24:25]
	v_add_f64 v[16:17], v[28:29], v[16:17]
	buffer_load_dword v28, off, s[60:63], 0 offset:592 ; 4-byte Folded Reload
	buffer_load_dword v29, off, s[60:63], 0 offset:596 ; 4-byte Folded Reload
	v_add_f64 v[26:27], v[32:33], v[26:27]
	s_waitcnt vmcnt(2)
	v_add_f64 v[20:21], v[20:21], -v[54:55]
	v_add_f64 v[32:33], v[234:235], v[18:19]
	v_add_f64 v[24:25], v[24:25], v[26:27]
	v_add_f64 v[18:19], v[20:21], v[16:17]
	v_add_f64 v[22:23], v[174:175], v[32:33]
	v_add_f64 v[20:21], v[172:173], v[34:35]
	v_add_f64 v[26:27], v[84:85], v[46:47]
	s_waitcnt vmcnt(0)
	v_add_f64 v[28:29], v[204:205], v[28:29]
	v_add_f64 v[16:17], v[28:29], v[24:25]
	buffer_load_dword v28, off, s[60:63], 0 ; 4-byte Folded Reload
	v_add_f64 v[24:25], v[36:37], v[38:39]
	s_waitcnt vmcnt(0)
	v_mul_lo_u16_e32 v28, 17, v28
	v_lshlrev_b32_e32 v28, 4, v28
	ds_write_b128 v28, v[20:23]
	ds_write_b128 v28, v[16:19] offset:16
	ds_write_b128 v28, v[12:15] offset:32
	;; [unrolled: 1-line block ×5, first 2 shown]
	buffer_load_dword v0, off, s[60:63], 0 offset:764 ; 4-byte Folded Reload
	buffer_load_dword v1, off, s[60:63], 0 offset:768 ; 4-byte Folded Reload
	buffer_load_dword v2, off, s[60:63], 0 offset:772 ; 4-byte Folded Reload
	buffer_load_dword v3, off, s[60:63], 0 offset:776 ; 4-byte Folded Reload
	s_waitcnt vmcnt(0)
	ds_write_b128 v28, v[0:3] offset:96
	buffer_load_dword v0, off, s[60:63], 0 offset:732 ; 4-byte Folded Reload
	buffer_load_dword v1, off, s[60:63], 0 offset:736 ; 4-byte Folded Reload
	buffer_load_dword v2, off, s[60:63], 0 offset:740 ; 4-byte Folded Reload
	buffer_load_dword v3, off, s[60:63], 0 offset:744 ; 4-byte Folded Reload
	s_waitcnt vmcnt(0)
	ds_write_b128 v28, v[0:3] offset:112
	;; [unrolled: 6-line block ×7, first 2 shown]
	ds_write_b128 v28, v[4:7] offset:208
	ds_write_b128 v28, v[64:67] offset:224
	;; [unrolled: 1-line block ×4, first 2 shown]
.LBB0_17:
	s_or_b64 exec, exec, s[22:23]
	s_waitcnt lgkmcnt(0)
	s_barrier
	ds_read_b128 v[0:3], v69
	ds_read_b128 v[4:7], v69 offset:13056
	ds_read_b128 v[8:11], v69 offset:1632
	;; [unrolled: 1-line block ×15, first 2 shown]
	buffer_load_dword v70, off, s[60:63], 0 offset:44 ; 4-byte Folded Reload
	buffer_load_dword v71, off, s[60:63], 0 offset:48 ; 4-byte Folded Reload
	;; [unrolled: 1-line block ×4, first 2 shown]
	s_waitcnt vmcnt(0) lgkmcnt(14)
	v_mul_f64 v[56:57], v[72:73], v[6:7]
	v_fma_f64 v[56:57], v[70:71], v[4:5], v[56:57]
	v_mul_f64 v[4:5], v[72:73], v[4:5]
	v_fma_f64 v[6:7], v[70:71], v[6:7], -v[4:5]
	buffer_load_dword v70, off, s[60:63], 0 offset:28 ; 4-byte Folded Reload
	buffer_load_dword v71, off, s[60:63], 0 offset:32 ; 4-byte Folded Reload
	;; [unrolled: 1-line block ×4, first 2 shown]
	v_add_f64 v[6:7], v[2:3], -v[6:7]
	v_fma_f64 v[2:3], v[2:3], 2.0, -v[6:7]
	s_waitcnt vmcnt(0) lgkmcnt(12)
	v_mul_f64 v[4:5], v[72:73], v[14:15]
	v_fma_f64 v[58:59], v[70:71], v[12:13], v[4:5]
	v_mul_f64 v[4:5], v[72:73], v[12:13]
	buffer_load_dword v72, off, s[60:63], 0 offset:76 ; 4-byte Folded Reload
	buffer_load_dword v73, off, s[60:63], 0 offset:80 ; 4-byte Folded Reload
	buffer_load_dword v74, off, s[60:63], 0 offset:84 ; 4-byte Folded Reload
	buffer_load_dword v75, off, s[60:63], 0 offset:88 ; 4-byte Folded Reload
	v_add_f64 v[12:13], v[8:9], -v[58:59]
	v_fma_f64 v[14:15], v[70:71], v[14:15], -v[4:5]
	v_fma_f64 v[8:9], v[8:9], 2.0, -v[12:13]
	v_add_f64 v[14:15], v[10:11], -v[14:15]
	v_fma_f64 v[10:11], v[10:11], 2.0, -v[14:15]
	s_waitcnt vmcnt(0) lgkmcnt(10)
	v_mul_f64 v[4:5], v[74:75], v[22:23]
	v_fma_f64 v[70:71], v[72:73], v[20:21], v[4:5]
	v_mul_f64 v[4:5], v[74:75], v[20:21]
	buffer_load_dword v74, off, s[60:63], 0 offset:60 ; 4-byte Folded Reload
	buffer_load_dword v75, off, s[60:63], 0 offset:64 ; 4-byte Folded Reload
	buffer_load_dword v76, off, s[60:63], 0 offset:68 ; 4-byte Folded Reload
	buffer_load_dword v77, off, s[60:63], 0 offset:72 ; 4-byte Folded Reload
	v_add_f64 v[20:21], v[16:17], -v[70:71]
	v_fma_f64 v[22:23], v[72:73], v[22:23], -v[4:5]
	v_fma_f64 v[16:17], v[16:17], 2.0, -v[20:21]
	v_add_f64 v[22:23], v[18:19], -v[22:23]
	v_fma_f64 v[18:19], v[18:19], 2.0, -v[22:23]
	s_waitcnt vmcnt(0) lgkmcnt(8)
	v_mul_f64 v[4:5], v[76:77], v[30:31]
	v_fma_f64 v[72:73], v[74:75], v[28:29], v[4:5]
	v_mul_f64 v[4:5], v[76:77], v[28:29]
	buffer_load_dword v76, off, s[60:63], 0 offset:108 ; 4-byte Folded Reload
	buffer_load_dword v77, off, s[60:63], 0 offset:112 ; 4-byte Folded Reload
	buffer_load_dword v78, off, s[60:63], 0 offset:116 ; 4-byte Folded Reload
	buffer_load_dword v79, off, s[60:63], 0 offset:120 ; 4-byte Folded Reload
	v_add_f64 v[28:29], v[24:25], -v[72:73]
	v_fma_f64 v[30:31], v[74:75], v[30:31], -v[4:5]
	v_fma_f64 v[24:25], v[24:25], 2.0, -v[28:29]
	v_add_f64 v[30:31], v[26:27], -v[30:31]
	v_fma_f64 v[26:27], v[26:27], 2.0, -v[30:31]
	s_waitcnt vmcnt(0) lgkmcnt(6)
	v_mul_f64 v[4:5], v[78:79], v[38:39]
	v_fma_f64 v[74:75], v[76:77], v[36:37], v[4:5]
	v_mul_f64 v[4:5], v[78:79], v[36:37]
	buffer_load_dword v78, off, s[60:63], 0 offset:92 ; 4-byte Folded Reload
	buffer_load_dword v79, off, s[60:63], 0 offset:96 ; 4-byte Folded Reload
	buffer_load_dword v80, off, s[60:63], 0 offset:100 ; 4-byte Folded Reload
	buffer_load_dword v81, off, s[60:63], 0 offset:104 ; 4-byte Folded Reload
	v_add_f64 v[36:37], v[32:33], -v[74:75]
	v_fma_f64 v[38:39], v[76:77], v[38:39], -v[4:5]
	v_fma_f64 v[32:33], v[32:33], 2.0, -v[36:37]
	v_add_f64 v[38:39], v[34:35], -v[38:39]
	v_fma_f64 v[34:35], v[34:35], 2.0, -v[38:39]
	s_waitcnt vmcnt(0) lgkmcnt(4)
	v_mul_f64 v[4:5], v[80:81], v[46:47]
	v_fma_f64 v[76:77], v[78:79], v[44:45], v[4:5]
	v_mul_f64 v[4:5], v[80:81], v[44:45]
	buffer_load_dword v80, off, s[60:63], 0 offset:152 ; 4-byte Folded Reload
	buffer_load_dword v81, off, s[60:63], 0 offset:156 ; 4-byte Folded Reload
	buffer_load_dword v82, off, s[60:63], 0 offset:160 ; 4-byte Folded Reload
	buffer_load_dword v83, off, s[60:63], 0 offset:164 ; 4-byte Folded Reload
	v_add_f64 v[44:45], v[40:41], -v[76:77]
	v_fma_f64 v[46:47], v[78:79], v[46:47], -v[4:5]
	v_fma_f64 v[40:41], v[40:41], 2.0, -v[44:45]
	v_add_f64 v[46:47], v[42:43], -v[46:47]
	v_fma_f64 v[42:43], v[42:43], 2.0, -v[46:47]
	s_waitcnt vmcnt(0) lgkmcnt(2)
	v_mul_f64 v[4:5], v[82:83], v[54:55]
	v_fma_f64 v[78:79], v[80:81], v[52:53], v[4:5]
	v_mul_f64 v[4:5], v[82:83], v[52:53]
	buffer_load_dword v82, off, s[60:63], 0 offset:124 ; 4-byte Folded Reload
	buffer_load_dword v83, off, s[60:63], 0 offset:128 ; 4-byte Folded Reload
	;; [unrolled: 1-line block ×4, first 2 shown]
	s_waitcnt vmcnt(0) lgkmcnt(0)
	s_barrier
	v_add_f64 v[52:53], v[48:49], -v[78:79]
	v_fma_f64 v[54:55], v[80:81], v[54:55], -v[4:5]
	v_fma_f64 v[48:49], v[48:49], 2.0, -v[52:53]
	v_add_f64 v[54:55], v[50:51], -v[54:55]
	v_fma_f64 v[50:51], v[50:51], 2.0, -v[54:55]
	v_mul_f64 v[4:5], v[84:85], v[66:67]
	v_fma_f64 v[80:81], v[82:83], v[64:65], v[4:5]
	v_mul_f64 v[4:5], v[84:85], v[64:65]
	v_add_f64 v[64:65], v[60:61], -v[80:81]
	v_fma_f64 v[66:67], v[82:83], v[66:67], -v[4:5]
	v_add_f64 v[4:5], v[0:1], -v[56:57]
	buffer_load_dword v56, off, s[60:63], 0 offset:140 ; 4-byte Folded Reload
	v_fma_f64 v[60:61], v[60:61], 2.0, -v[64:65]
	v_add_f64 v[66:67], v[62:63], -v[66:67]
	v_fma_f64 v[0:1], v[0:1], 2.0, -v[4:5]
	s_waitcnt vmcnt(0)
	ds_write_b128 v56, v[0:3]
	ds_write_b128 v56, v[4:7] offset:272
	buffer_load_dword v0, off, s[60:63], 0 offset:144 ; 4-byte Folded Reload
	v_fma_f64 v[62:63], v[62:63], 2.0, -v[66:67]
	s_waitcnt vmcnt(0)
	ds_write_b128 v0, v[8:11]
	ds_write_b128 v0, v[12:15] offset:272
	buffer_load_dword v0, off, s[60:63], 0 offset:148 ; 4-byte Folded Reload
	s_waitcnt vmcnt(0)
	ds_write_b128 v0, v[16:19]
	ds_write_b128 v0, v[20:23] offset:272
	buffer_load_dword v0, off, s[60:63], 0 offset:168 ; 4-byte Folded Reload
	;; [unrolled: 4-line block ×6, first 2 shown]
	s_waitcnt vmcnt(0)
	ds_write_b128 v0, v[60:63]
	ds_write_b128 v0, v[64:67] offset:272
	s_waitcnt lgkmcnt(0)
	s_barrier
	ds_read_b128 v[0:3], v69
	ds_read_b128 v[4:7], v69 offset:13056
	ds_read_b128 v[8:11], v69 offset:1632
	;; [unrolled: 1-line block ×15, first 2 shown]
	buffer_load_dword v70, off, s[60:63], 0 offset:220 ; 4-byte Folded Reload
	buffer_load_dword v71, off, s[60:63], 0 offset:224 ; 4-byte Folded Reload
	;; [unrolled: 1-line block ×4, first 2 shown]
	s_waitcnt vmcnt(0) lgkmcnt(14)
	v_mul_f64 v[56:57], v[72:73], v[6:7]
	v_fma_f64 v[56:57], v[70:71], v[4:5], v[56:57]
	v_mul_f64 v[4:5], v[72:73], v[4:5]
	v_fma_f64 v[6:7], v[70:71], v[6:7], -v[4:5]
	buffer_load_dword v70, off, s[60:63], 0 offset:188 ; 4-byte Folded Reload
	buffer_load_dword v71, off, s[60:63], 0 offset:192 ; 4-byte Folded Reload
	;; [unrolled: 1-line block ×4, first 2 shown]
	v_add_f64 v[6:7], v[2:3], -v[6:7]
	s_waitcnt vmcnt(0) lgkmcnt(12)
	v_mul_f64 v[4:5], v[72:73], v[14:15]
	v_fma_f64 v[58:59], v[70:71], v[12:13], v[4:5]
	v_mul_f64 v[4:5], v[72:73], v[12:13]
	v_fma_f64 v[70:71], v[70:71], v[14:15], -v[4:5]
	buffer_load_dword v12, off, s[60:63], 0 offset:236 ; 4-byte Folded Reload
	buffer_load_dword v13, off, s[60:63], 0 offset:240 ; 4-byte Folded Reload
	;; [unrolled: 1-line block ×4, first 2 shown]
	s_waitcnt vmcnt(0) lgkmcnt(10)
	v_mul_f64 v[4:5], v[14:15], v[22:23]
	v_fma_f64 v[72:73], v[12:13], v[20:21], v[4:5]
	v_mul_f64 v[4:5], v[14:15], v[20:21]
	v_add_f64 v[20:21], v[8:9], -v[58:59]
	v_fma_f64 v[74:75], v[12:13], v[22:23], -v[4:5]
	buffer_load_dword v12, off, s[60:63], 0 offset:204 ; 4-byte Folded Reload
	buffer_load_dword v13, off, s[60:63], 0 offset:208 ; 4-byte Folded Reload
	buffer_load_dword v14, off, s[60:63], 0 offset:212 ; 4-byte Folded Reload
	buffer_load_dword v15, off, s[60:63], 0 offset:216 ; 4-byte Folded Reload
	v_add_f64 v[22:23], v[10:11], -v[70:71]
	v_fma_f64 v[8:9], v[8:9], 2.0, -v[20:21]
	v_fma_f64 v[10:11], v[10:11], 2.0, -v[22:23]
	s_waitcnt vmcnt(0) lgkmcnt(8)
	v_mul_f64 v[4:5], v[14:15], v[30:31]
	v_fma_f64 v[76:77], v[12:13], v[28:29], v[4:5]
	v_mul_f64 v[4:5], v[14:15], v[28:29]
	v_add_f64 v[28:29], v[16:17], -v[72:73]
	v_fma_f64 v[78:79], v[12:13], v[30:31], -v[4:5]
	buffer_load_dword v12, off, s[60:63], 0 offset:268 ; 4-byte Folded Reload
	buffer_load_dword v13, off, s[60:63], 0 offset:272 ; 4-byte Folded Reload
	buffer_load_dword v14, off, s[60:63], 0 offset:276 ; 4-byte Folded Reload
	buffer_load_dword v15, off, s[60:63], 0 offset:280 ; 4-byte Folded Reload
	v_add_f64 v[30:31], v[18:19], -v[74:75]
	v_fma_f64 v[16:17], v[16:17], 2.0, -v[28:29]
	v_fma_f64 v[18:19], v[18:19], 2.0, -v[30:31]
	;; [unrolled: 13-line block ×4, first 2 shown]
	s_waitcnt vmcnt(0) lgkmcnt(2)
	v_mul_f64 v[4:5], v[14:15], v[54:55]
	v_fma_f64 v[88:89], v[12:13], v[52:53], v[4:5]
	v_mul_f64 v[4:5], v[14:15], v[52:53]
	v_add_f64 v[52:53], v[40:41], -v[84:85]
	v_fma_f64 v[90:91], v[12:13], v[54:55], -v[4:5]
	buffer_load_dword v12, off, s[60:63], 0 offset:284 ; 4-byte Folded Reload
	buffer_load_dword v13, off, s[60:63], 0 offset:288 ; 4-byte Folded Reload
	;; [unrolled: 1-line block ×4, first 2 shown]
	s_waitcnt vmcnt(0) lgkmcnt(0)
	s_barrier
	v_add_f64 v[54:55], v[42:43], -v[86:87]
	v_fma_f64 v[40:41], v[40:41], 2.0, -v[52:53]
	v_add_f64 v[58:59], v[50:51], -v[90:91]
	v_fma_f64 v[42:43], v[42:43], 2.0, -v[54:55]
	v_fma_f64 v[50:51], v[50:51], 2.0, -v[58:59]
	v_mul_f64 v[4:5], v[14:15], v[66:67]
	v_fma_f64 v[92:93], v[12:13], v[64:65], v[4:5]
	v_mul_f64 v[4:5], v[14:15], v[64:65]
	v_fma_f64 v[14:15], v[2:3], 2.0, -v[6:7]
	v_fma_f64 v[64:65], v[12:13], v[66:67], -v[4:5]
	v_add_f64 v[4:5], v[0:1], -v[56:57]
	v_add_f64 v[56:57], v[48:49], -v[88:89]
	;; [unrolled: 1-line block ×3, first 2 shown]
	buffer_load_dword v64, off, s[60:63], 0 offset:300 ; 4-byte Folded Reload
	v_fma_f64 v[12:13], v[0:1], 2.0, -v[4:5]
	v_add_f64 v[0:1], v[60:61], -v[92:93]
	v_fma_f64 v[48:49], v[48:49], 2.0, -v[56:57]
	s_waitcnt vmcnt(0)
	ds_write_b128 v64, v[12:15]
	ds_write_b128 v64, v[4:7] offset:544
	buffer_load_dword v4, off, s[60:63], 0 offset:304 ; 4-byte Folded Reload
	v_fma_f64 v[60:61], v[60:61], 2.0, -v[0:1]
	v_fma_f64 v[62:63], v[62:63], 2.0, -v[2:3]
	s_waitcnt vmcnt(0)
	ds_write_b128 v4, v[8:11]
	ds_write_b128 v4, v[20:23] offset:544
	buffer_load_dword v4, off, s[60:63], 0 offset:308 ; 4-byte Folded Reload
	s_waitcnt vmcnt(0)
	ds_write_b128 v4, v[16:19]
	ds_write_b128 v4, v[28:31] offset:544
	buffer_load_dword v4, off, s[60:63], 0 offset:328 ; 4-byte Folded Reload
	;; [unrolled: 4-line block ×3, first 2 shown]
	s_waitcnt vmcnt(0)
	ds_write_b128 v4, v[32:35]
	ds_write_b128 v4, v[44:47] offset:544
	ds_write_b128 v102, v[40:43]
	ds_write_b128 v102, v[52:55] offset:544
	;; [unrolled: 2-line block ×4, first 2 shown]
	s_waitcnt lgkmcnt(0)
	s_barrier
	ds_read_b128 v[20:23], v69
	ds_read_b128 v[60:63], v69 offset:8704
	ds_read_b128 v[52:55], v69 offset:17408
	;; [unrolled: 1-line block ×14, first 2 shown]
	s_and_saveexec_b64 s[2:3], s[0:1]
	s_cbranch_execz .LBB0_19
; %bb.18:
	ds_read_b128 v[0:3], v69 offset:8160
	ds_read_b128 v[240:243], v69 offset:16864
	;; [unrolled: 1-line block ×3, first 2 shown]
	s_waitcnt lgkmcnt(0)
	buffer_store_dword v64, off, s[60:63], 0 offset:12 ; 4-byte Folded Spill
	s_nop 0
	buffer_store_dword v65, off, s[60:63], 0 offset:16 ; 4-byte Folded Spill
	buffer_store_dword v66, off, s[60:63], 0 offset:20 ; 4-byte Folded Spill
	;; [unrolled: 1-line block ×3, first 2 shown]
.LBB0_19:
	s_or_b64 exec, exec, s[2:3]
	buffer_load_dword v84, off, s[60:63], 0 offset:352 ; 4-byte Folded Reload
	buffer_load_dword v85, off, s[60:63], 0 offset:356 ; 4-byte Folded Reload
	;; [unrolled: 1-line block ×12, first 2 shown]
	s_waitcnt lgkmcnt(10)
	v_mul_f64 v[74:75], v[110:111], v[58:59]
	v_mul_f64 v[76:77], v[110:111], v[56:57]
	s_mov_b32 s2, 0xe8584caa
	s_mov_b32 s3, 0xbfebb67a
	;; [unrolled: 1-line block ×4, first 2 shown]
	v_fma_f64 v[56:57], v[108:109], v[56:57], v[74:75]
	v_fma_f64 v[58:59], v[108:109], v[58:59], -v[76:77]
	s_waitcnt vmcnt(8)
	v_mul_f64 v[64:65], v[86:87], v[62:63]
	v_mul_f64 v[66:67], v[86:87], v[60:61]
	s_waitcnt vmcnt(4)
	v_mul_f64 v[70:71], v[82:83], v[54:55]
	v_mul_f64 v[72:73], v[82:83], v[52:53]
	s_waitcnt vmcnt(0) lgkmcnt(9)
	v_mul_f64 v[78:79], v[90:91], v[46:47]
	v_fma_f64 v[60:61], v[84:85], v[60:61], v[64:65]
	v_fma_f64 v[62:63], v[84:85], v[62:63], -v[66:67]
	buffer_load_dword v82, off, s[60:63], 0 offset:384 ; 4-byte Folded Reload
	buffer_load_dword v83, off, s[60:63], 0 offset:388 ; 4-byte Folded Reload
	;; [unrolled: 1-line block ×4, first 2 shown]
	v_fma_f64 v[52:53], v[80:81], v[52:53], v[70:71]
	v_fma_f64 v[54:55], v[80:81], v[54:55], -v[72:73]
	v_mul_f64 v[64:65], v[90:91], v[44:45]
	v_fma_f64 v[44:45], v[88:89], v[44:45], v[78:79]
	buffer_load_dword v78, off, s[60:63], 0 offset:368 ; 4-byte Folded Reload
	buffer_load_dword v79, off, s[60:63], 0 offset:372 ; 4-byte Folded Reload
	;; [unrolled: 1-line block ×4, first 2 shown]
	v_fma_f64 v[46:47], v[88:89], v[46:47], -v[64:65]
	s_waitcnt vmcnt(4) lgkmcnt(7)
	v_mul_f64 v[66:67], v[84:85], v[50:51]
	v_mul_f64 v[70:71], v[84:85], v[48:49]
	buffer_load_dword v84, off, s[60:63], 0 offset:416 ; 4-byte Folded Reload
	buffer_load_dword v85, off, s[60:63], 0 offset:420 ; 4-byte Folded Reload
	;; [unrolled: 1-line block ×4, first 2 shown]
	s_waitcnt vmcnt(4) lgkmcnt(6)
	v_mul_f64 v[72:73], v[80:81], v[38:39]
	v_mul_f64 v[74:75], v[80:81], v[36:37]
	v_fma_f64 v[48:49], v[82:83], v[48:49], v[66:67]
	v_fma_f64 v[50:51], v[82:83], v[50:51], -v[70:71]
	buffer_load_dword v80, off, s[60:63], 0 offset:400 ; 4-byte Folded Reload
	buffer_load_dword v81, off, s[60:63], 0 offset:404 ; 4-byte Folded Reload
	;; [unrolled: 1-line block ×4, first 2 shown]
	v_fma_f64 v[70:71], v[78:79], v[36:37], v[72:73]
	v_fma_f64 v[72:73], v[78:79], v[38:39], -v[74:75]
	s_waitcnt vmcnt(4) lgkmcnt(4)
	v_mul_f64 v[76:77], v[86:87], v[42:43]
	v_mul_f64 v[64:65], v[86:87], v[40:41]
	s_waitcnt vmcnt(0) lgkmcnt(3)
	v_mul_f64 v[66:67], v[82:83], v[34:35]
	v_fma_f64 v[74:75], v[84:85], v[40:41], v[76:77]
	v_mul_f64 v[36:37], v[82:83], v[32:33]
	v_fma_f64 v[64:65], v[84:85], v[42:43], -v[64:65]
	buffer_load_dword v82, off, s[60:63], 0 offset:432 ; 4-byte Folded Reload
	buffer_load_dword v83, off, s[60:63], 0 offset:436 ; 4-byte Folded Reload
	;; [unrolled: 1-line block ×8, first 2 shown]
	v_add_f64 v[40:41], v[60:61], v[52:53]
	s_waitcnt lgkmcnt(0)
	v_fma_f64 v[66:67], v[80:81], v[32:33], v[66:67]
	s_waitcnt vmcnt(0)
	s_barrier
	v_fma_f64 v[78:79], v[80:81], v[34:35], -v[36:37]
	v_add_f64 v[34:35], v[20:21], v[60:61]
	v_add_f64 v[36:37], v[62:63], -v[54:55]
	v_mul_f64 v[38:39], v[84:85], v[30:31]
	v_mul_f64 v[76:77], v[88:89], v[24:25]
	;; [unrolled: 1-line block ×4, first 2 shown]
	v_fma_f64 v[80:81], v[82:83], v[28:29], v[38:39]
	v_fma_f64 v[76:77], v[86:87], v[26:27], -v[76:77]
	v_add_f64 v[26:27], v[62:63], v[54:55]
	v_fma_f64 v[28:29], v[40:41], -0.5, v[20:21]
	v_fma_f64 v[82:83], v[82:83], v[30:31], -v[32:33]
	v_add_f64 v[30:31], v[22:23], v[62:63]
	v_add_f64 v[20:21], v[34:35], v[52:53]
	;; [unrolled: 1-line block ×3, first 2 shown]
	v_add_f64 v[38:39], v[60:61], -v[52:53]
	v_add_f64 v[40:41], v[58:59], v[46:47]
	v_fma_f64 v[34:35], v[26:27], -0.5, v[22:23]
	v_fma_f64 v[84:85], v[86:87], v[24:25], v[42:43]
	v_fma_f64 v[24:25], v[36:37], s[2:3], v[28:29]
	;; [unrolled: 1-line block ×3, first 2 shown]
	v_add_f64 v[36:37], v[16:17], v[56:57]
	v_add_f64 v[22:23], v[30:31], v[54:55]
	;; [unrolled: 1-line block ×3, first 2 shown]
	v_fma_f64 v[42:43], v[32:33], -0.5, v[16:17]
	v_add_f64 v[52:53], v[58:59], -v[46:47]
	v_fma_f64 v[26:27], v[38:39], s[8:9], v[34:35]
	v_fma_f64 v[30:31], v[38:39], s[2:3], v[34:35]
	v_add_f64 v[34:35], v[48:49], v[70:71]
	v_fma_f64 v[38:39], v[40:41], -0.5, v[18:19]
	v_add_f64 v[40:41], v[56:57], -v[44:45]
	v_add_f64 v[16:17], v[36:37], v[44:45]
	v_add_f64 v[18:19], v[54:55], v[46:47]
	v_fma_f64 v[32:33], v[52:53], s[2:3], v[42:43]
	v_fma_f64 v[36:37], v[52:53], s[8:9], v[42:43]
	v_add_f64 v[42:43], v[50:51], v[72:73]
	v_fma_f64 v[46:47], v[34:35], -0.5, v[12:13]
	v_add_f64 v[44:45], v[12:13], v[48:49]
	v_fma_f64 v[34:35], v[40:41], s[8:9], v[38:39]
	v_fma_f64 v[38:39], v[40:41], s[2:3], v[38:39]
	ds_write_b128 v103, v[20:23]
	ds_write_b128 v103, v[24:27] offset:1088
	ds_write_b128 v103, v[28:31] offset:2176
	ds_write_b128 v106, v[16:19]
	ds_write_b128 v106, v[32:35] offset:1088
	ds_write_b128 v106, v[36:39] offset:2176
	buffer_load_dword v16, off, s[60:63], 0 offset:480 ; 4-byte Folded Reload
	v_add_f64 v[52:53], v[50:51], -v[72:73]
	v_add_f64 v[50:51], v[14:15], v[50:51]
	v_fma_f64 v[56:57], v[42:43], -0.5, v[14:15]
	v_add_f64 v[48:49], v[48:49], -v[70:71]
	v_add_f64 v[12:13], v[44:45], v[70:71]
	v_add_f64 v[54:55], v[74:75], v[66:67]
	v_add_f64 v[60:61], v[64:65], -v[78:79]
	v_add_f64 v[58:59], v[4:5], v[74:75]
	v_fma_f64 v[40:41], v[52:53], s[2:3], v[46:47]
	v_add_f64 v[14:15], v[50:51], v[72:73]
	v_fma_f64 v[44:45], v[52:53], s[8:9], v[46:47]
	v_fma_f64 v[42:43], v[48:49], s[8:9], v[56:57]
	;; [unrolled: 1-line block ×3, first 2 shown]
	v_fma_f64 v[54:55], v[54:55], -0.5, v[4:5]
	v_add_f64 v[50:51], v[64:65], v[78:79]
	v_add_f64 v[56:57], v[80:81], v[84:85]
	;; [unrolled: 1-line block ×4, first 2 shown]
	v_add_f64 v[62:63], v[74:75], -v[66:67]
	v_add_f64 v[64:65], v[8:9], v[80:81]
	v_add_f64 v[72:73], v[10:11], v[82:83]
	v_fma_f64 v[48:49], v[60:61], s[2:3], v[54:55]
	v_fma_f64 v[52:53], v[60:61], s[8:9], v[54:55]
	v_add_f64 v[54:55], v[82:83], v[76:77]
	v_fma_f64 v[60:61], v[50:51], -0.5, v[6:7]
	v_fma_f64 v[66:67], v[56:57], -0.5, v[8:9]
	v_add_f64 v[70:71], v[82:83], -v[76:77]
	v_add_f64 v[80:81], v[80:81], -v[84:85]
	v_add_f64 v[6:7], v[58:59], v[78:79]
	v_add_f64 v[8:9], v[64:65], v[84:85]
	s_waitcnt vmcnt(0)
	ds_write_b128 v16, v[12:15]
	ds_write_b128 v16, v[40:43] offset:1088
	ds_write_b128 v16, v[44:47] offset:2176
	buffer_load_dword v12, off, s[60:63], 0 offset:484 ; 4-byte Folded Reload
	v_fma_f64 v[74:75], v[54:55], -0.5, v[10:11]
	v_fma_f64 v[50:51], v[62:63], s[8:9], v[60:61]
	v_fma_f64 v[54:55], v[62:63], s[2:3], v[60:61]
	v_add_f64 v[10:11], v[72:73], v[76:77]
	v_fma_f64 v[56:57], v[70:71], s[2:3], v[66:67]
	v_fma_f64 v[60:61], v[70:71], s[8:9], v[66:67]
	;; [unrolled: 1-line block ×4, first 2 shown]
	s_waitcnt vmcnt(0)
	ds_write_b128 v12, v[4:7]
	ds_write_b128 v12, v[48:51] offset:1088
	ds_write_b128 v12, v[52:55] offset:2176
	ds_write_b128 v128, v[8:11]
	ds_write_b128 v128, v[56:59] offset:1088
	ds_write_b128 v128, v[60:63] offset:2176
	s_mov_b64 s[10:11], exec
	buffer_load_dword v86, off, s[60:63], 0 ; 4-byte Folded Reload
	s_and_b64 s[0:1], s[10:11], s[0:1]
	s_mov_b64 exec, s[0:1]
	s_cbranch_execz .LBB0_21
; %bb.20:
	buffer_load_dword v12, off, s[60:63], 0 offset:12 ; 4-byte Folded Reload
	buffer_load_dword v13, off, s[60:63], 0 offset:16 ; 4-byte Folded Reload
	;; [unrolled: 1-line block ×4, first 2 shown]
	v_mul_f64 v[4:5], v[100:101], v[240:241]
	v_mul_f64 v[8:9], v[100:101], v[242:243]
	v_fma_f64 v[4:5], v[98:99], v[242:243], -v[4:5]
	v_fma_f64 v[8:9], v[98:99], v[240:241], v[8:9]
	v_add_f64 v[18:19], v[2:3], v[4:5]
	s_waitcnt vmcnt(2)
	v_mul_f64 v[6:7], v[96:97], v[12:13]
	s_waitcnt vmcnt(0)
	v_mul_f64 v[10:11], v[96:97], v[14:15]
	v_fma_f64 v[6:7], v[94:95], v[14:15], -v[6:7]
	v_fma_f64 v[10:11], v[94:95], v[12:13], v[10:11]
	v_add_f64 v[12:13], v[4:5], v[6:7]
	v_add_f64 v[14:15], v[8:9], v[10:11]
	v_add_f64 v[16:17], v[8:9], -v[10:11]
	v_add_f64 v[8:9], v[0:1], v[8:9]
	v_add_f64 v[4:5], v[4:5], -v[6:7]
	v_fma_f64 v[12:13], v[12:13], -0.5, v[2:3]
	v_fma_f64 v[14:15], v[14:15], -0.5, v[0:1]
	v_add_f64 v[2:3], v[18:19], v[6:7]
	v_add_f64 v[0:1], v[8:9], v[10:11]
	v_fma_f64 v[10:11], v[16:17], s[8:9], v[12:13]
	v_fma_f64 v[8:9], v[4:5], s[2:3], v[14:15]
	;; [unrolled: 1-line block ×4, first 2 shown]
	ds_write_b128 v104, v[0:3] offset:22848
	ds_write_b128 v104, v[8:11] offset:23936
	;; [unrolled: 1-line block ×3, first 2 shown]
.LBB0_21:
	s_or_b64 exec, exec, s[10:11]
	s_waitcnt vmcnt(0) lgkmcnt(0)
	s_barrier
	ds_read_b128 v[0:3], v69
	ds_read_b128 v[4:7], v69 offset:1632
	ds_read_b128 v[8:11], v69 offset:3264
	;; [unrolled: 1-line block ×15, first 2 shown]
	buffer_load_dword v82, off, s[60:63], 0 offset:488 ; 4-byte Folded Reload
	buffer_load_dword v83, off, s[60:63], 0 offset:492 ; 4-byte Folded Reload
	buffer_load_dword v84, off, s[60:63], 0 offset:496 ; 4-byte Folded Reload
	buffer_load_dword v85, off, s[60:63], 0 offset:500 ; 4-byte Folded Reload
	s_waitcnt lgkmcnt(13)
	v_mul_f64 v[64:65], v[142:143], v[10:11]
	v_mul_f64 v[66:67], v[142:143], v[8:9]
	s_waitcnt lgkmcnt(9)
	v_mul_f64 v[70:71], v[122:123], v[26:27]
	v_mul_f64 v[72:73], v[122:123], v[24:25]
	;; [unrolled: 3-line block ×4, first 2 shown]
	v_fma_f64 v[8:9], v[140:141], v[8:9], v[64:65]
	v_fma_f64 v[10:11], v[140:141], v[10:11], -v[66:67]
	v_mul_f64 v[64:65], v[126:127], v[18:19]
	v_mul_f64 v[66:67], v[126:127], v[16:17]
	v_fma_f64 v[24:25], v[120:121], v[24:25], v[70:71]
	v_fma_f64 v[26:27], v[120:121], v[26:27], -v[72:73]
	v_fma_f64 v[32:33], v[116:117], v[32:33], v[74:75]
	v_fma_f64 v[34:35], v[116:117], v[34:35], -v[76:77]
	v_fma_f64 v[40:41], v[136:137], v[40:41], v[78:79]
	v_fma_f64 v[42:43], v[136:137], v[42:43], -v[80:81]
	v_fma_f64 v[16:17], v[124:125], v[16:17], v[64:65]
	v_fma_f64 v[18:19], v[124:125], v[18:19], -v[66:67]
	s_waitcnt lgkmcnt(3)
	v_mul_f64 v[64:65], v[134:135], v[50:51]
	v_mul_f64 v[66:67], v[134:135], v[48:49]
	;; [unrolled: 1-line block ×6, first 2 shown]
	s_mov_b32 s0, 0x667f3bcd
	s_mov_b32 s1, 0xbfe6a09e
	v_fma_f64 v[48:49], v[132:133], v[48:49], v[64:65]
	v_fma_f64 v[50:51], v[132:133], v[50:51], -v[66:67]
	v_fma_f64 v[64:65], v[164:165], v[12:13], v[74:75]
	v_fma_f64 v[66:67], v[164:165], v[14:15], -v[76:77]
	v_mul_f64 v[12:13], v[154:155], v[30:31]
	v_mul_f64 v[14:15], v[154:155], v[28:29]
	;; [unrolled: 1-line block ×4, first 2 shown]
	s_mov_b32 s3, 0x3fe6a09e
	s_mov_b32 s2, s0
	v_fma_f64 v[28:29], v[152:153], v[28:29], v[12:13]
	v_fma_f64 v[30:31], v[152:153], v[30:31], -v[14:15]
	v_add_f64 v[12:13], v[0:1], -v[32:33]
	v_add_f64 v[14:15], v[2:3], -v[34:35]
	v_add_f64 v[32:33], v[8:9], -v[40:41]
	v_add_f64 v[34:35], v[10:11], -v[42:43]
	v_fma_f64 v[44:45], v[168:169], v[44:45], v[74:75]
	v_fma_f64 v[46:47], v[168:169], v[46:47], -v[76:77]
	v_fma_f64 v[0:1], v[0:1], 2.0, -v[12:13]
	v_fma_f64 v[2:3], v[2:3], 2.0, -v[14:15]
	;; [unrolled: 1-line block ×4, first 2 shown]
	v_add_f64 v[44:45], v[64:65], -v[44:45]
	v_add_f64 v[46:47], v[66:67], -v[46:47]
	v_fma_f64 v[64:65], v[64:65], 2.0, -v[44:45]
	v_fma_f64 v[66:67], v[66:67], 2.0, -v[46:47]
	s_waitcnt vmcnt(0) lgkmcnt(1)
	v_mul_f64 v[70:71], v[84:85], v[58:59]
	v_mul_f64 v[72:73], v[84:85], v[56:57]
	v_fma_f64 v[56:57], v[82:83], v[56:57], v[70:71]
	v_fma_f64 v[58:59], v[82:83], v[58:59], -v[72:73]
	v_fma_f64 v[70:71], v[156:157], v[20:21], v[78:79]
	v_fma_f64 v[72:73], v[156:157], v[22:23], -v[80:81]
	v_mul_f64 v[20:21], v[150:151], v[38:39]
	v_mul_f64 v[22:23], v[150:151], v[36:37]
	;; [unrolled: 1-line block ×4, first 2 shown]
	v_add_f64 v[40:41], v[24:25], -v[56:57]
	v_add_f64 v[42:43], v[26:27], -v[58:59]
	v_fma_f64 v[36:37], v[148:149], v[36:37], v[20:21]
	v_fma_f64 v[38:39], v[148:149], v[38:39], -v[22:23]
	v_add_f64 v[20:21], v[16:17], -v[48:49]
	v_add_f64 v[22:23], v[18:19], -v[50:51]
	v_fma_f64 v[24:25], v[24:25], 2.0, -v[40:41]
	v_fma_f64 v[26:27], v[26:27], 2.0, -v[42:43]
	v_add_f64 v[42:43], v[32:33], v[42:43]
	v_add_f64 v[40:41], v[34:35], -v[40:41]
	v_fma_f64 v[52:53], v[160:161], v[52:53], v[78:79]
	v_fma_f64 v[54:55], v[160:161], v[54:55], -v[80:81]
	v_add_f64 v[50:51], v[14:15], -v[20:21]
	v_add_f64 v[48:49], v[12:13], v[22:23]
	v_fma_f64 v[16:17], v[16:17], 2.0, -v[20:21]
	v_fma_f64 v[18:19], v[18:19], 2.0, -v[22:23]
	v_add_f64 v[36:37], v[4:5], -v[36:37]
	v_add_f64 v[38:39], v[6:7], -v[38:39]
	;; [unrolled: 1-line block ×4, first 2 shown]
	v_fma_f64 v[22:23], v[14:15], 2.0, -v[50:51]
	v_fma_f64 v[20:21], v[12:13], 2.0, -v[48:49]
	;; [unrolled: 1-line block ×4, first 2 shown]
	s_waitcnt lgkmcnt(0)
	v_mul_f64 v[32:33], v[146:147], v[62:63]
	v_mul_f64 v[34:35], v[146:147], v[60:61]
	v_add_f64 v[56:57], v[0:1], -v[16:17]
	v_add_f64 v[58:59], v[2:3], -v[18:19]
	v_add_f64 v[16:17], v[8:9], -v[24:25]
	v_add_f64 v[18:19], v[10:11], -v[26:27]
	v_fma_f64 v[32:33], v[144:145], v[60:61], v[32:33]
	v_fma_f64 v[34:35], v[144:145], v[62:63], -v[34:35]
	v_fma_f64 v[24:25], v[0:1], 2.0, -v[56:57]
	v_fma_f64 v[26:27], v[2:3], 2.0, -v[58:59]
	;; [unrolled: 1-line block ×4, first 2 shown]
	v_fma_f64 v[8:9], v[12:13], s[0:1], v[20:21]
	v_fma_f64 v[10:11], v[14:15], s[0:1], v[22:23]
	v_fma_f64 v[60:61], v[4:5], 2.0, -v[36:37]
	v_fma_f64 v[62:63], v[6:7], 2.0, -v[38:39]
	v_add_f64 v[4:5], v[28:29], -v[32:33]
	v_add_f64 v[6:7], v[30:31], -v[34:35]
	;; [unrolled: 1-line block ×4, first 2 shown]
	v_fma_f64 v[8:9], v[14:15], s[2:3], v[8:9]
	v_fma_f64 v[10:11], v[12:13], s[0:1], v[10:11]
	v_add_f64 v[12:13], v[56:57], v[18:19]
	v_add_f64 v[14:15], v[58:59], -v[16:17]
	v_fma_f64 v[32:33], v[70:71], 2.0, -v[52:53]
	v_fma_f64 v[34:35], v[72:73], 2.0, -v[54:55]
	v_add_f64 v[70:71], v[36:37], v[54:55]
	v_add_f64 v[72:73], v[38:39], -v[52:53]
	v_fma_f64 v[28:29], v[28:29], 2.0, -v[4:5]
	v_fma_f64 v[30:31], v[30:31], 2.0, -v[6:7]
	v_add_f64 v[52:53], v[44:45], v[6:7]
	v_add_f64 v[54:55], v[46:47], -v[4:5]
	v_fma_f64 v[16:17], v[24:25], 2.0, -v[0:1]
	v_fma_f64 v[18:19], v[26:27], 2.0, -v[2:3]
	v_fma_f64 v[24:25], v[56:57], 2.0, -v[12:13]
	v_fma_f64 v[26:27], v[58:59], 2.0, -v[14:15]
	v_fma_f64 v[56:57], v[42:43], s[2:3], v[48:49]
	v_fma_f64 v[58:59], v[40:41], s[2:3], v[50:51]
	v_add_f64 v[74:75], v[60:61], -v[32:33]
	v_add_f64 v[76:77], v[62:63], -v[34:35]
	v_fma_f64 v[78:79], v[36:37], 2.0, -v[70:71]
	v_fma_f64 v[80:81], v[38:39], 2.0, -v[72:73]
	v_add_f64 v[82:83], v[64:65], -v[28:29]
	v_add_f64 v[84:85], v[66:67], -v[30:31]
	v_fma_f64 v[38:39], v[44:45], 2.0, -v[52:53]
	v_fma_f64 v[36:37], v[46:47], 2.0, -v[54:55]
	v_fma_f64 v[4:5], v[40:41], s[2:3], v[56:57]
	v_fma_f64 v[6:7], v[42:43], s[0:1], v[58:59]
	v_fma_f64 v[56:57], v[60:61], 2.0, -v[74:75]
	v_fma_f64 v[58:59], v[62:63], 2.0, -v[76:77]
	;; [unrolled: 1-line block ×4, first 2 shown]
	v_fma_f64 v[40:41], v[38:39], s[0:1], v[78:79]
	v_fma_f64 v[42:43], v[36:37], s[0:1], v[80:81]
	;; [unrolled: 1-line block ×4, first 2 shown]
	v_fma_f64 v[20:21], v[20:21], 2.0, -v[8:9]
	v_fma_f64 v[22:23], v[22:23], 2.0, -v[10:11]
	v_add_f64 v[32:33], v[56:57], -v[32:33]
	v_add_f64 v[34:35], v[58:59], -v[34:35]
	v_fma_f64 v[36:37], v[36:37], s[2:3], v[40:41]
	v_fma_f64 v[38:39], v[38:39], s[0:1], v[42:43]
	v_add_f64 v[40:41], v[74:75], v[84:85]
	v_add_f64 v[42:43], v[76:77], -v[82:83]
	v_fma_f64 v[44:45], v[54:55], s[2:3], v[44:45]
	v_fma_f64 v[46:47], v[52:53], s[0:1], v[46:47]
	v_fma_f64 v[28:29], v[48:49], 2.0, -v[4:5]
	v_fma_f64 v[30:31], v[50:51], 2.0, -v[6:7]
	;; [unrolled: 1-line block ×10, first 2 shown]
	ds_write_b128 v69, v[16:19]
	ds_write_b128 v69, v[20:23] offset:3264
	ds_write_b128 v69, v[24:27] offset:6528
	;; [unrolled: 1-line block ×15, first 2 shown]
	s_waitcnt lgkmcnt(0)
	s_barrier
	s_and_b64 exec, exec, vcc
	s_cbranch_execz .LBB0_23
; %bb.22:
	global_load_dwordx4 v[0:3], v68, s[12:13]
	buffer_load_dword v22, off, s[60:63], 0 offset:4 ; 4-byte Folded Reload
	buffer_load_dword v23, off, s[60:63], 0 offset:8 ; 4-byte Folded Reload
	ds_read_b128 v[4:7], v69
	v_mad_u64_u32 v[14:15], s[0:1], s4, v86, 0
	ds_read_b128 v[8:11], v68 offset:1536
	ds_read_b128 v[16:19], v68 offset:24576
	s_mul_i32 s3, s5, 0x600
	s_mul_i32 s2, s4, 0x600
	v_or_b32_e32 v28, 0x180, v86
	s_movk_i32 s9, 0x2000
	s_mul_i32 s8, s4, 0xc00
	s_waitcnt vmcnt(2) lgkmcnt(2)
	v_mul_f64 v[20:21], v[6:7], v[2:3]
	v_mul_f64 v[2:3], v[4:5], v[2:3]
	s_waitcnt vmcnt(1)
	v_mad_u64_u32 v[12:13], s[0:1], s6, v22, 0
	s_mul_hi_u32 s6, s4, 0x600
	s_add_i32 s3, s6, s3
	s_waitcnt vmcnt(0)
	v_mad_u64_u32 v[22:23], s[0:1], s7, v22, v[13:14]
	v_fma_f64 v[4:5], v[4:5], v[0:1], v[20:21]
	v_fma_f64 v[2:3], v[0:1], v[6:7], -v[2:3]
	s_waitcnt lgkmcnt(0)
	v_mad_u64_u32 v[23:24], s[0:1], s5, v86, v[15:16]
	s_mov_b32 s0, 0x14141414
	s_mov_b32 s1, 0x3f441414
	v_mov_b32_e32 v13, v22
	v_lshlrev_b64 v[6:7], 4, v[12:13]
	v_mul_f64 v[0:1], v[4:5], s[0:1]
	v_mul_f64 v[2:3], v[2:3], s[0:1]
	v_mov_b32_e32 v15, v23
	v_mov_b32_e32 v20, s15
	v_lshlrev_b64 v[12:13], 4, v[14:15]
	v_add_co_u32_e32 v24, vcc, s14, v6
	v_addc_co_u32_e32 v25, vcc, v20, v7, vcc
	v_add_co_u32_e32 v4, vcc, v24, v12
	v_addc_co_u32_e32 v5, vcc, v25, v13, vcc
	global_store_dwordx4 v[4:5], v[0:3], off
	global_load_dwordx4 v[0:3], v68, s[12:13] offset:1536
	v_add_co_u32_e32 v12, vcc, s2, v4
	v_mov_b32_e32 v20, s13
	s_movk_i32 s6, 0x1000
	s_waitcnt vmcnt(0)
	v_mul_f64 v[6:7], v[10:11], v[2:3]
	v_mul_f64 v[2:3], v[8:9], v[2:3]
	v_fma_f64 v[6:7], v[8:9], v[0:1], v[6:7]
	v_fma_f64 v[2:3], v[0:1], v[10:11], -v[2:3]
	v_mul_f64 v[0:1], v[6:7], s[0:1]
	v_mul_f64 v[2:3], v[2:3], s[0:1]
	v_mov_b32_e32 v6, s3
	v_addc_co_u32_e32 v13, vcc, v5, v6, vcc
	v_add_co_u32_e32 v26, vcc, s12, v68
	v_addc_co_u32_e32 v27, vcc, 0, v20, vcc
	global_store_dwordx4 v[12:13], v[0:3], off
	global_load_dwordx4 v[0:3], v68, s[12:13] offset:3072
	ds_read_b128 v[4:7], v68 offset:3072
	ds_read_b128 v[8:11], v68 offset:4608
	s_waitcnt vmcnt(0) lgkmcnt(1)
	v_mul_f64 v[14:15], v[6:7], v[2:3]
	v_mul_f64 v[2:3], v[4:5], v[2:3]
	v_fma_f64 v[4:5], v[4:5], v[0:1], v[14:15]
	v_fma_f64 v[2:3], v[0:1], v[6:7], -v[2:3]
	v_add_co_u32_e32 v14, vcc, s6, v26
	v_addc_co_u32_e32 v15, vcc, 0, v27, vcc
	v_mov_b32_e32 v6, s3
	v_mad_u64_u32 v[22:23], s[6:7], s4, v28, 0
	v_mul_f64 v[0:1], v[4:5], s[0:1]
	v_mul_f64 v[2:3], v[2:3], s[0:1]
	v_add_co_u32_e32 v4, vcc, s2, v12
	v_addc_co_u32_e32 v5, vcc, v13, v6, vcc
	v_add_co_u32_e32 v12, vcc, s2, v4
	global_store_dwordx4 v[4:5], v[0:3], off
	global_load_dwordx4 v[0:3], v[14:15], off offset:512
	s_waitcnt vmcnt(0) lgkmcnt(0)
	v_mul_f64 v[6:7], v[10:11], v[2:3]
	v_mul_f64 v[2:3], v[8:9], v[2:3]
	v_fma_f64 v[6:7], v[8:9], v[0:1], v[6:7]
	v_fma_f64 v[2:3], v[0:1], v[10:11], -v[2:3]
	v_mul_f64 v[0:1], v[6:7], s[0:1]
	v_mul_f64 v[2:3], v[2:3], s[0:1]
	v_mov_b32_e32 v7, s3
	v_addc_co_u32_e32 v13, vcc, v5, v7, vcc
	v_lshlrev_b32_e32 v6, 4, v28
	global_store_dwordx4 v[12:13], v[0:3], off
	global_load_dwordx4 v[0:3], v6, s[12:13]
	ds_read_b128 v[4:7], v68 offset:6144
	ds_read_b128 v[8:11], v68 offset:7680
	s_waitcnt vmcnt(0) lgkmcnt(1)
	v_mul_f64 v[20:21], v[6:7], v[2:3]
	v_mul_f64 v[2:3], v[4:5], v[2:3]
	v_fma_f64 v[4:5], v[4:5], v[0:1], v[20:21]
	v_fma_f64 v[2:3], v[0:1], v[6:7], -v[2:3]
	v_mov_b32_e32 v0, v23
	v_mad_u64_u32 v[6:7], s[6:7], s5, v28, v[0:1]
	s_mul_i32 s6, s5, 0xc00
	s_mul_hi_u32 s7, s4, 0xc00
	v_mov_b32_e32 v23, v6
	v_mul_f64 v[0:1], v[4:5], s[0:1]
	v_mul_f64 v[2:3], v[2:3], s[0:1]
	v_lshlrev_b64 v[4:5], 4, v[22:23]
	s_add_i32 s10, s7, s6
	v_add_co_u32_e32 v4, vcc, v24, v4
	v_addc_co_u32_e32 v5, vcc, v25, v5, vcc
	v_mov_b32_e32 v6, s10
	global_store_dwordx4 v[4:5], v[0:3], off
	global_load_dwordx4 v[0:3], v[14:15], off offset:3584
	v_add_co_u32_e32 v14, vcc, s9, v26
	v_addc_co_u32_e32 v15, vcc, 0, v27, vcc
	v_add_co_u32_e32 v12, vcc, s8, v12
	v_addc_co_u32_e32 v13, vcc, v13, v6, vcc
	v_or_b32_e32 v22, 0x300, v86
	s_movk_i32 s9, 0x3000
	v_or_b32_e32 v28, 0x480, v86
	s_waitcnt vmcnt(0) lgkmcnt(0)
	v_mul_f64 v[4:5], v[10:11], v[2:3]
	v_mul_f64 v[2:3], v[8:9], v[2:3]
	v_fma_f64 v[4:5], v[8:9], v[0:1], v[4:5]
	v_fma_f64 v[2:3], v[0:1], v[10:11], -v[2:3]
	v_mul_f64 v[0:1], v[4:5], s[0:1]
	v_mul_f64 v[2:3], v[2:3], s[0:1]
	global_store_dwordx4 v[12:13], v[0:3], off
	global_load_dwordx4 v[0:3], v[14:15], off offset:1024
	ds_read_b128 v[4:7], v68 offset:9216
	ds_read_b128 v[8:11], v68 offset:10752
	s_waitcnt vmcnt(0) lgkmcnt(1)
	v_mul_f64 v[20:21], v[6:7], v[2:3]
	v_mul_f64 v[2:3], v[4:5], v[2:3]
	v_fma_f64 v[4:5], v[4:5], v[0:1], v[20:21]
	v_fma_f64 v[2:3], v[0:1], v[6:7], -v[2:3]
	v_mad_u64_u32 v[20:21], s[6:7], s4, v22, 0
	v_mul_f64 v[0:1], v[4:5], s[0:1]
	v_mul_f64 v[2:3], v[2:3], s[0:1]
	v_mov_b32_e32 v5, s3
	v_add_co_u32_e32 v4, vcc, s2, v12
	v_addc_co_u32_e32 v5, vcc, v13, v5, vcc
	v_add_co_u32_e32 v12, vcc, s2, v4
	global_store_dwordx4 v[4:5], v[0:3], off
	global_load_dwordx4 v[0:3], v[14:15], off offset:2560
	s_waitcnt vmcnt(0) lgkmcnt(0)
	v_mul_f64 v[6:7], v[10:11], v[2:3]
	v_mul_f64 v[2:3], v[8:9], v[2:3]
	v_fma_f64 v[6:7], v[8:9], v[0:1], v[6:7]
	v_fma_f64 v[2:3], v[0:1], v[10:11], -v[2:3]
	v_mul_f64 v[0:1], v[6:7], s[0:1]
	v_mul_f64 v[2:3], v[2:3], s[0:1]
	v_mov_b32_e32 v7, s3
	v_addc_co_u32_e32 v13, vcc, v5, v7, vcc
	v_lshlrev_b32_e32 v6, 4, v22
	global_store_dwordx4 v[12:13], v[0:3], off
	global_load_dwordx4 v[0:3], v6, s[12:13]
	ds_read_b128 v[4:7], v68 offset:12288
	ds_read_b128 v[8:11], v68 offset:13824
	s_waitcnt vmcnt(0) lgkmcnt(1)
	v_mul_f64 v[14:15], v[6:7], v[2:3]
	v_mul_f64 v[2:3], v[4:5], v[2:3]
	v_fma_f64 v[4:5], v[4:5], v[0:1], v[14:15]
	v_fma_f64 v[2:3], v[0:1], v[6:7], -v[2:3]
	v_mov_b32_e32 v0, v21
	v_mad_u64_u32 v[6:7], s[6:7], s5, v22, v[0:1]
	s_movk_i32 s6, 0x4000
	v_mov_b32_e32 v21, v6
	v_mul_f64 v[0:1], v[4:5], s[0:1]
	v_mul_f64 v[2:3], v[2:3], s[0:1]
	v_add_co_u32_e32 v4, vcc, s9, v26
	v_lshlrev_b64 v[6:7], 4, v[20:21]
	v_addc_co_u32_e32 v5, vcc, 0, v27, vcc
	v_add_co_u32_e32 v6, vcc, v24, v6
	v_addc_co_u32_e32 v7, vcc, v25, v7, vcc
	global_store_dwordx4 v[6:7], v[0:3], off
	global_load_dwordx4 v[0:3], v[4:5], off offset:1536
	v_add_co_u32_e32 v12, vcc, s8, v12
	s_waitcnt vmcnt(0) lgkmcnt(0)
	v_mul_f64 v[6:7], v[10:11], v[2:3]
	v_mul_f64 v[2:3], v[8:9], v[2:3]
	v_fma_f64 v[6:7], v[8:9], v[0:1], v[6:7]
	v_fma_f64 v[2:3], v[0:1], v[10:11], -v[2:3]
	v_mul_f64 v[0:1], v[6:7], s[0:1]
	v_mul_f64 v[2:3], v[2:3], s[0:1]
	v_mov_b32_e32 v6, s10
	v_addc_co_u32_e32 v13, vcc, v13, v6, vcc
	global_store_dwordx4 v[12:13], v[0:3], off
	global_load_dwordx4 v[0:3], v[4:5], off offset:3072
	ds_read_b128 v[4:7], v68 offset:15360
	ds_read_b128 v[8:11], v68 offset:16896
	s_waitcnt vmcnt(0) lgkmcnt(1)
	v_mul_f64 v[14:15], v[6:7], v[2:3]
	v_mul_f64 v[2:3], v[4:5], v[2:3]
	v_fma_f64 v[4:5], v[4:5], v[0:1], v[14:15]
	v_fma_f64 v[2:3], v[0:1], v[6:7], -v[2:3]
	v_add_co_u32_e32 v14, vcc, s6, v26
	v_addc_co_u32_e32 v15, vcc, 0, v27, vcc
	v_mov_b32_e32 v6, s3
	v_mad_u64_u32 v[22:23], s[6:7], s4, v28, 0
	v_mul_f64 v[0:1], v[4:5], s[0:1]
	v_mul_f64 v[2:3], v[2:3], s[0:1]
	v_add_co_u32_e32 v4, vcc, s2, v12
	v_addc_co_u32_e32 v5, vcc, v13, v6, vcc
	v_add_co_u32_e32 v12, vcc, s2, v4
	global_store_dwordx4 v[4:5], v[0:3], off
	global_load_dwordx4 v[0:3], v[14:15], off offset:512
	s_waitcnt vmcnt(0) lgkmcnt(0)
	v_mul_f64 v[6:7], v[10:11], v[2:3]
	v_mul_f64 v[2:3], v[8:9], v[2:3]
	v_fma_f64 v[6:7], v[8:9], v[0:1], v[6:7]
	v_fma_f64 v[2:3], v[0:1], v[10:11], -v[2:3]
	v_mul_f64 v[0:1], v[6:7], s[0:1]
	v_mul_f64 v[2:3], v[2:3], s[0:1]
	v_mov_b32_e32 v7, s3
	v_addc_co_u32_e32 v13, vcc, v5, v7, vcc
	v_lshlrev_b32_e32 v6, 4, v28
	global_store_dwordx4 v[12:13], v[0:3], off
	global_load_dwordx4 v[0:3], v6, s[12:13]
	ds_read_b128 v[4:7], v68 offset:18432
	ds_read_b128 v[8:11], v68 offset:19968
	s_waitcnt vmcnt(0) lgkmcnt(1)
	v_mul_f64 v[20:21], v[6:7], v[2:3]
	v_mul_f64 v[2:3], v[4:5], v[2:3]
	v_fma_f64 v[4:5], v[4:5], v[0:1], v[20:21]
	v_fma_f64 v[2:3], v[0:1], v[6:7], -v[2:3]
	v_mov_b32_e32 v0, v23
	v_mad_u64_u32 v[6:7], s[6:7], s5, v28, v[0:1]
	s_movk_i32 s6, 0x5000
	v_mov_b32_e32 v23, v6
	v_mul_f64 v[0:1], v[4:5], s[0:1]
	v_mul_f64 v[2:3], v[2:3], s[0:1]
	v_lshlrev_b64 v[4:5], 4, v[22:23]
	v_mov_b32_e32 v6, s10
	v_add_co_u32_e32 v4, vcc, v24, v4
	v_addc_co_u32_e32 v5, vcc, v25, v5, vcc
	global_store_dwordx4 v[4:5], v[0:3], off
	global_load_dwordx4 v[0:3], v[14:15], off offset:3584
	v_add_co_u32_e32 v14, vcc, s6, v26
	v_addc_co_u32_e32 v15, vcc, 0, v27, vcc
	v_add_co_u32_e32 v12, vcc, s8, v12
	v_addc_co_u32_e32 v13, vcc, v13, v6, vcc
	s_waitcnt vmcnt(0) lgkmcnt(0)
	v_mul_f64 v[4:5], v[10:11], v[2:3]
	v_mul_f64 v[2:3], v[8:9], v[2:3]
	v_fma_f64 v[4:5], v[8:9], v[0:1], v[4:5]
	v_fma_f64 v[2:3], v[0:1], v[10:11], -v[2:3]
	v_mul_f64 v[0:1], v[4:5], s[0:1]
	v_mul_f64 v[2:3], v[2:3], s[0:1]
	global_store_dwordx4 v[12:13], v[0:3], off
	global_load_dwordx4 v[0:3], v[14:15], off offset:1024
	ds_read_b128 v[4:7], v68 offset:21504
	ds_read_b128 v[8:11], v68 offset:23040
	s_waitcnt vmcnt(0) lgkmcnt(1)
	v_mul_f64 v[20:21], v[6:7], v[2:3]
	v_mul_f64 v[2:3], v[4:5], v[2:3]
	v_fma_f64 v[4:5], v[4:5], v[0:1], v[20:21]
	v_fma_f64 v[2:3], v[0:1], v[6:7], -v[2:3]
	v_mul_f64 v[0:1], v[4:5], s[0:1]
	v_mul_f64 v[2:3], v[2:3], s[0:1]
	v_mov_b32_e32 v5, s3
	v_add_co_u32_e32 v4, vcc, s2, v12
	v_addc_co_u32_e32 v5, vcc, v13, v5, vcc
	global_store_dwordx4 v[4:5], v[0:3], off
	global_load_dwordx4 v[0:3], v[14:15], off offset:2560
	v_add_co_u32_e32 v4, vcc, s2, v4
	s_waitcnt vmcnt(0) lgkmcnt(0)
	v_mul_f64 v[6:7], v[10:11], v[2:3]
	v_mul_f64 v[2:3], v[8:9], v[2:3]
	v_fma_f64 v[6:7], v[8:9], v[0:1], v[6:7]
	v_fma_f64 v[2:3], v[0:1], v[10:11], -v[2:3]
	v_or_b32_e32 v8, 0x600, v86
	v_mul_f64 v[0:1], v[6:7], s[0:1]
	v_mul_f64 v[2:3], v[2:3], s[0:1]
	v_mov_b32_e32 v7, s3
	v_addc_co_u32_e32 v5, vcc, v5, v7, vcc
	v_lshlrev_b32_e32 v6, 4, v8
	global_store_dwordx4 v[4:5], v[0:3], off
	global_load_dwordx4 v[0:3], v6, s[12:13]
	v_mad_u64_u32 v[6:7], s[2:3], s4, v8, 0
	s_waitcnt vmcnt(0)
	v_mul_f64 v[4:5], v[18:19], v[2:3]
	v_mul_f64 v[2:3], v[16:17], v[2:3]
	v_fma_f64 v[4:5], v[16:17], v[0:1], v[4:5]
	v_fma_f64 v[2:3], v[0:1], v[18:19], -v[2:3]
	v_mov_b32_e32 v0, v7
	v_mad_u64_u32 v[7:8], s[2:3], s5, v8, v[0:1]
	v_mul_f64 v[0:1], v[4:5], s[0:1]
	v_mul_f64 v[2:3], v[2:3], s[0:1]
	v_lshlrev_b64 v[4:5], 4, v[6:7]
	v_add_co_u32_e32 v4, vcc, v24, v4
	v_addc_co_u32_e32 v5, vcc, v25, v5, vcc
	global_store_dwordx4 v[4:5], v[0:3], off
.LBB0_23:
	s_endpgm
	.section	.rodata,"a",@progbits
	.p2align	6, 0x0
	.amdhsa_kernel bluestein_single_fwd_len1632_dim1_dp_op_CI_CI
		.amdhsa_group_segment_fixed_size 26112
		.amdhsa_private_segment_fixed_size 784
		.amdhsa_kernarg_size 104
		.amdhsa_user_sgpr_count 6
		.amdhsa_user_sgpr_private_segment_buffer 1
		.amdhsa_user_sgpr_dispatch_ptr 0
		.amdhsa_user_sgpr_queue_ptr 0
		.amdhsa_user_sgpr_kernarg_segment_ptr 1
		.amdhsa_user_sgpr_dispatch_id 0
		.amdhsa_user_sgpr_flat_scratch_init 0
		.amdhsa_user_sgpr_private_segment_size 0
		.amdhsa_uses_dynamic_stack 0
		.amdhsa_system_sgpr_private_segment_wavefront_offset 1
		.amdhsa_system_sgpr_workgroup_id_x 1
		.amdhsa_system_sgpr_workgroup_id_y 0
		.amdhsa_system_sgpr_workgroup_id_z 0
		.amdhsa_system_sgpr_workgroup_info 0
		.amdhsa_system_vgpr_workitem_id 0
		.amdhsa_next_free_vgpr 256
		.amdhsa_next_free_sgpr 64
		.amdhsa_reserve_vcc 1
		.amdhsa_reserve_flat_scratch 0
		.amdhsa_float_round_mode_32 0
		.amdhsa_float_round_mode_16_64 0
		.amdhsa_float_denorm_mode_32 3
		.amdhsa_float_denorm_mode_16_64 3
		.amdhsa_dx10_clamp 1
		.amdhsa_ieee_mode 1
		.amdhsa_fp16_overflow 0
		.amdhsa_exception_fp_ieee_invalid_op 0
		.amdhsa_exception_fp_denorm_src 0
		.amdhsa_exception_fp_ieee_div_zero 0
		.amdhsa_exception_fp_ieee_overflow 0
		.amdhsa_exception_fp_ieee_underflow 0
		.amdhsa_exception_fp_ieee_inexact 0
		.amdhsa_exception_int_div_zero 0
	.end_amdhsa_kernel
	.text
.Lfunc_end0:
	.size	bluestein_single_fwd_len1632_dim1_dp_op_CI_CI, .Lfunc_end0-bluestein_single_fwd_len1632_dim1_dp_op_CI_CI
                                        ; -- End function
	.section	.AMDGPU.csdata,"",@progbits
; Kernel info:
; codeLenInByte = 32340
; NumSgprs: 68
; NumVgprs: 256
; ScratchSize: 784
; MemoryBound: 0
; FloatMode: 240
; IeeeMode: 1
; LDSByteSize: 26112 bytes/workgroup (compile time only)
; SGPRBlocks: 8
; VGPRBlocks: 63
; NumSGPRsForWavesPerEU: 68
; NumVGPRsForWavesPerEU: 256
; Occupancy: 1
; WaveLimiterHint : 1
; COMPUTE_PGM_RSRC2:SCRATCH_EN: 1
; COMPUTE_PGM_RSRC2:USER_SGPR: 6
; COMPUTE_PGM_RSRC2:TRAP_HANDLER: 0
; COMPUTE_PGM_RSRC2:TGID_X_EN: 1
; COMPUTE_PGM_RSRC2:TGID_Y_EN: 0
; COMPUTE_PGM_RSRC2:TGID_Z_EN: 0
; COMPUTE_PGM_RSRC2:TIDIG_COMP_CNT: 0
	.type	__hip_cuid_e2af2a18a91bfbdb,@object ; @__hip_cuid_e2af2a18a91bfbdb
	.section	.bss,"aw",@nobits
	.globl	__hip_cuid_e2af2a18a91bfbdb
__hip_cuid_e2af2a18a91bfbdb:
	.byte	0                               ; 0x0
	.size	__hip_cuid_e2af2a18a91bfbdb, 1

	.ident	"AMD clang version 19.0.0git (https://github.com/RadeonOpenCompute/llvm-project roc-6.4.0 25133 c7fe45cf4b819c5991fe208aaa96edf142730f1d)"
	.section	".note.GNU-stack","",@progbits
	.addrsig
	.addrsig_sym __hip_cuid_e2af2a18a91bfbdb
	.amdgpu_metadata
---
amdhsa.kernels:
  - .args:
      - .actual_access:  read_only
        .address_space:  global
        .offset:         0
        .size:           8
        .value_kind:     global_buffer
      - .actual_access:  read_only
        .address_space:  global
        .offset:         8
        .size:           8
        .value_kind:     global_buffer
      - .actual_access:  read_only
        .address_space:  global
        .offset:         16
        .size:           8
        .value_kind:     global_buffer
      - .actual_access:  read_only
        .address_space:  global
        .offset:         24
        .size:           8
        .value_kind:     global_buffer
      - .actual_access:  read_only
        .address_space:  global
        .offset:         32
        .size:           8
        .value_kind:     global_buffer
      - .offset:         40
        .size:           8
        .value_kind:     by_value
      - .address_space:  global
        .offset:         48
        .size:           8
        .value_kind:     global_buffer
      - .address_space:  global
        .offset:         56
        .size:           8
        .value_kind:     global_buffer
      - .address_space:  global
        .offset:         64
        .size:           8
        .value_kind:     global_buffer
      - .address_space:  global
        .offset:         72
        .size:           8
        .value_kind:     global_buffer
      - .offset:         80
        .size:           4
        .value_kind:     by_value
      - .address_space:  global
        .offset:         88
        .size:           8
        .value_kind:     global_buffer
      - .address_space:  global
        .offset:         96
        .size:           8
        .value_kind:     global_buffer
    .group_segment_fixed_size: 26112
    .kernarg_segment_align: 8
    .kernarg_segment_size: 104
    .language:       OpenCL C
    .language_version:
      - 2
      - 0
    .max_flat_workgroup_size: 102
    .name:           bluestein_single_fwd_len1632_dim1_dp_op_CI_CI
    .private_segment_fixed_size: 784
    .sgpr_count:     68
    .sgpr_spill_count: 0
    .symbol:         bluestein_single_fwd_len1632_dim1_dp_op_CI_CI.kd
    .uniform_work_group_size: 1
    .uses_dynamic_stack: false
    .vgpr_count:     256
    .vgpr_spill_count: 199
    .wavefront_size: 64
amdhsa.target:   amdgcn-amd-amdhsa--gfx906
amdhsa.version:
  - 1
  - 2
...

	.end_amdgpu_metadata
